;; amdgpu-corpus repo=ROCm/rocFFT kind=compiled arch=gfx1201 opt=O3
	.text
	.amdgcn_target "amdgcn-amd-amdhsa--gfx1201"
	.amdhsa_code_object_version 6
	.protected	fft_rtc_back_len2700_factors_3_10_10_3_3_wgs_90_tpt_90_halfLds_sp_ip_CI_unitstride_sbrr_dirReg ; -- Begin function fft_rtc_back_len2700_factors_3_10_10_3_3_wgs_90_tpt_90_halfLds_sp_ip_CI_unitstride_sbrr_dirReg
	.globl	fft_rtc_back_len2700_factors_3_10_10_3_3_wgs_90_tpt_90_halfLds_sp_ip_CI_unitstride_sbrr_dirReg
	.p2align	8
	.type	fft_rtc_back_len2700_factors_3_10_10_3_3_wgs_90_tpt_90_halfLds_sp_ip_CI_unitstride_sbrr_dirReg,@function
fft_rtc_back_len2700_factors_3_10_10_3_3_wgs_90_tpt_90_halfLds_sp_ip_CI_unitstride_sbrr_dirReg: ; @fft_rtc_back_len2700_factors_3_10_10_3_3_wgs_90_tpt_90_halfLds_sp_ip_CI_unitstride_sbrr_dirReg
; %bb.0:
	s_clause 0x2
	s_load_b128 s[4:7], s[0:1], 0x0
	s_load_b64 s[8:9], s[0:1], 0x50
	s_load_b64 s[10:11], s[0:1], 0x18
	v_mul_u32_u24_e32 v1, 0x2d9, v0
	v_mov_b32_e32 v3, 0
	s_delay_alu instid0(VALU_DEP_2) | instskip(NEXT) | instid1(VALU_DEP_1)
	v_lshrrev_b32_e32 v1, 16, v1
	v_add_nc_u32_e32 v5, ttmp9, v1
	v_mov_b32_e32 v1, 0
	v_mov_b32_e32 v2, 0
	;; [unrolled: 1-line block ×3, first 2 shown]
	s_wait_kmcnt 0x0
	v_cmp_lt_u64_e64 s2, s[6:7], 2
	s_delay_alu instid0(VALU_DEP_1)
	s_and_b32 vcc_lo, exec_lo, s2
	s_cbranch_vccnz .LBB0_8
; %bb.1:
	s_load_b64 s[2:3], s[0:1], 0x10
	v_mov_b32_e32 v1, 0
	v_mov_b32_e32 v2, 0
	s_add_nc_u64 s[12:13], s[10:11], 8
	s_mov_b64 s[14:15], 1
	s_wait_kmcnt 0x0
	s_add_nc_u64 s[16:17], s[2:3], 8
	s_mov_b32 s3, 0
.LBB0_2:                                ; =>This Inner Loop Header: Depth=1
	s_load_b64 s[18:19], s[16:17], 0x0
                                        ; implicit-def: $vgpr7_vgpr8
	s_mov_b32 s2, exec_lo
	s_wait_kmcnt 0x0
	v_or_b32_e32 v4, s19, v6
	s_delay_alu instid0(VALU_DEP_1)
	v_cmpx_ne_u64_e32 0, v[3:4]
	s_wait_alu 0xfffe
	s_xor_b32 s20, exec_lo, s2
	s_cbranch_execz .LBB0_4
; %bb.3:                                ;   in Loop: Header=BB0_2 Depth=1
	s_cvt_f32_u32 s2, s18
	s_cvt_f32_u32 s21, s19
	s_sub_nc_u64 s[24:25], 0, s[18:19]
	s_wait_alu 0xfffe
	s_delay_alu instid0(SALU_CYCLE_1) | instskip(SKIP_1) | instid1(SALU_CYCLE_2)
	s_fmamk_f32 s2, s21, 0x4f800000, s2
	s_wait_alu 0xfffe
	v_s_rcp_f32 s2, s2
	s_delay_alu instid0(TRANS32_DEP_1) | instskip(SKIP_1) | instid1(SALU_CYCLE_2)
	s_mul_f32 s2, s2, 0x5f7ffffc
	s_wait_alu 0xfffe
	s_mul_f32 s21, s2, 0x2f800000
	s_wait_alu 0xfffe
	s_delay_alu instid0(SALU_CYCLE_2) | instskip(SKIP_1) | instid1(SALU_CYCLE_2)
	s_trunc_f32 s21, s21
	s_wait_alu 0xfffe
	s_fmamk_f32 s2, s21, 0xcf800000, s2
	s_cvt_u32_f32 s23, s21
	s_wait_alu 0xfffe
	s_delay_alu instid0(SALU_CYCLE_1) | instskip(SKIP_1) | instid1(SALU_CYCLE_2)
	s_cvt_u32_f32 s22, s2
	s_wait_alu 0xfffe
	s_mul_u64 s[26:27], s[24:25], s[22:23]
	s_wait_alu 0xfffe
	s_mul_hi_u32 s29, s22, s27
	s_mul_i32 s28, s22, s27
	s_mul_hi_u32 s2, s22, s26
	s_mul_i32 s30, s23, s26
	s_wait_alu 0xfffe
	s_add_nc_u64 s[28:29], s[2:3], s[28:29]
	s_mul_hi_u32 s21, s23, s26
	s_mul_hi_u32 s31, s23, s27
	s_add_co_u32 s2, s28, s30
	s_wait_alu 0xfffe
	s_add_co_ci_u32 s2, s29, s21
	s_mul_i32 s26, s23, s27
	s_add_co_ci_u32 s27, s31, 0
	s_wait_alu 0xfffe
	s_add_nc_u64 s[26:27], s[2:3], s[26:27]
	s_wait_alu 0xfffe
	v_add_co_u32 v4, s2, s22, s26
	s_delay_alu instid0(VALU_DEP_1) | instskip(SKIP_1) | instid1(VALU_DEP_1)
	s_cmp_lg_u32 s2, 0
	s_add_co_ci_u32 s23, s23, s27
	v_readfirstlane_b32 s22, v4
	s_wait_alu 0xfffe
	s_delay_alu instid0(VALU_DEP_1)
	s_mul_u64 s[24:25], s[24:25], s[22:23]
	s_wait_alu 0xfffe
	s_mul_hi_u32 s27, s22, s25
	s_mul_i32 s26, s22, s25
	s_mul_hi_u32 s2, s22, s24
	s_mul_i32 s28, s23, s24
	s_wait_alu 0xfffe
	s_add_nc_u64 s[26:27], s[2:3], s[26:27]
	s_mul_hi_u32 s21, s23, s24
	s_mul_hi_u32 s22, s23, s25
	s_wait_alu 0xfffe
	s_add_co_u32 s2, s26, s28
	s_add_co_ci_u32 s2, s27, s21
	s_mul_i32 s24, s23, s25
	s_add_co_ci_u32 s25, s22, 0
	s_wait_alu 0xfffe
	s_add_nc_u64 s[24:25], s[2:3], s[24:25]
	s_wait_alu 0xfffe
	v_add_co_u32 v4, s2, v4, s24
	s_delay_alu instid0(VALU_DEP_1) | instskip(SKIP_1) | instid1(VALU_DEP_1)
	s_cmp_lg_u32 s2, 0
	s_add_co_ci_u32 s2, s23, s25
	v_mul_hi_u32 v13, v5, v4
	s_wait_alu 0xfffe
	v_mad_co_u64_u32 v[7:8], null, v5, s2, 0
	v_mad_co_u64_u32 v[9:10], null, v6, v4, 0
	;; [unrolled: 1-line block ×3, first 2 shown]
	s_delay_alu instid0(VALU_DEP_3) | instskip(SKIP_1) | instid1(VALU_DEP_4)
	v_add_co_u32 v4, vcc_lo, v13, v7
	s_wait_alu 0xfffd
	v_add_co_ci_u32_e32 v7, vcc_lo, 0, v8, vcc_lo
	s_delay_alu instid0(VALU_DEP_2) | instskip(SKIP_1) | instid1(VALU_DEP_2)
	v_add_co_u32 v4, vcc_lo, v4, v9
	s_wait_alu 0xfffd
	v_add_co_ci_u32_e32 v4, vcc_lo, v7, v10, vcc_lo
	s_wait_alu 0xfffd
	v_add_co_ci_u32_e32 v7, vcc_lo, 0, v12, vcc_lo
	s_delay_alu instid0(VALU_DEP_2) | instskip(SKIP_1) | instid1(VALU_DEP_2)
	v_add_co_u32 v4, vcc_lo, v4, v11
	s_wait_alu 0xfffd
	v_add_co_ci_u32_e32 v9, vcc_lo, 0, v7, vcc_lo
	s_delay_alu instid0(VALU_DEP_2) | instskip(SKIP_1) | instid1(VALU_DEP_3)
	v_mul_lo_u32 v10, s19, v4
	v_mad_co_u64_u32 v[7:8], null, s18, v4, 0
	v_mul_lo_u32 v11, s18, v9
	s_delay_alu instid0(VALU_DEP_2) | instskip(NEXT) | instid1(VALU_DEP_2)
	v_sub_co_u32 v7, vcc_lo, v5, v7
	v_add3_u32 v8, v8, v11, v10
	s_delay_alu instid0(VALU_DEP_1) | instskip(SKIP_1) | instid1(VALU_DEP_1)
	v_sub_nc_u32_e32 v10, v6, v8
	s_wait_alu 0xfffd
	v_subrev_co_ci_u32_e64 v10, s2, s19, v10, vcc_lo
	v_add_co_u32 v11, s2, v4, 2
	s_wait_alu 0xf1ff
	v_add_co_ci_u32_e64 v12, s2, 0, v9, s2
	v_sub_co_u32 v13, s2, v7, s18
	v_sub_co_ci_u32_e32 v8, vcc_lo, v6, v8, vcc_lo
	s_wait_alu 0xf1ff
	v_subrev_co_ci_u32_e64 v10, s2, 0, v10, s2
	s_delay_alu instid0(VALU_DEP_3) | instskip(NEXT) | instid1(VALU_DEP_3)
	v_cmp_le_u32_e32 vcc_lo, s18, v13
	v_cmp_eq_u32_e64 s2, s19, v8
	s_wait_alu 0xfffd
	v_cndmask_b32_e64 v13, 0, -1, vcc_lo
	v_cmp_le_u32_e32 vcc_lo, s19, v10
	s_wait_alu 0xfffd
	v_cndmask_b32_e64 v14, 0, -1, vcc_lo
	v_cmp_le_u32_e32 vcc_lo, s18, v7
	;; [unrolled: 3-line block ×3, first 2 shown]
	s_wait_alu 0xfffd
	v_cndmask_b32_e64 v15, 0, -1, vcc_lo
	v_cmp_eq_u32_e32 vcc_lo, s19, v10
	s_wait_alu 0xf1ff
	s_delay_alu instid0(VALU_DEP_2)
	v_cndmask_b32_e64 v7, v15, v7, s2
	s_wait_alu 0xfffd
	v_cndmask_b32_e32 v10, v14, v13, vcc_lo
	v_add_co_u32 v13, vcc_lo, v4, 1
	s_wait_alu 0xfffd
	v_add_co_ci_u32_e32 v14, vcc_lo, 0, v9, vcc_lo
	s_delay_alu instid0(VALU_DEP_3) | instskip(SKIP_2) | instid1(VALU_DEP_3)
	v_cmp_ne_u32_e32 vcc_lo, 0, v10
	s_wait_alu 0xfffd
	v_cndmask_b32_e32 v10, v13, v11, vcc_lo
	v_cndmask_b32_e32 v8, v14, v12, vcc_lo
	v_cmp_ne_u32_e32 vcc_lo, 0, v7
	s_wait_alu 0xfffd
	s_delay_alu instid0(VALU_DEP_2)
	v_dual_cndmask_b32 v7, v4, v10 :: v_dual_cndmask_b32 v8, v9, v8
.LBB0_4:                                ;   in Loop: Header=BB0_2 Depth=1
	s_wait_alu 0xfffe
	s_and_not1_saveexec_b32 s2, s20
	s_cbranch_execz .LBB0_6
; %bb.5:                                ;   in Loop: Header=BB0_2 Depth=1
	v_cvt_f32_u32_e32 v4, s18
	s_sub_co_i32 s20, 0, s18
	s_delay_alu instid0(VALU_DEP_1) | instskip(NEXT) | instid1(TRANS32_DEP_1)
	v_rcp_iflag_f32_e32 v4, v4
	v_mul_f32_e32 v4, 0x4f7ffffe, v4
	s_delay_alu instid0(VALU_DEP_1) | instskip(SKIP_1) | instid1(VALU_DEP_1)
	v_cvt_u32_f32_e32 v4, v4
	s_wait_alu 0xfffe
	v_mul_lo_u32 v7, s20, v4
	s_delay_alu instid0(VALU_DEP_1) | instskip(NEXT) | instid1(VALU_DEP_1)
	v_mul_hi_u32 v7, v4, v7
	v_add_nc_u32_e32 v4, v4, v7
	s_delay_alu instid0(VALU_DEP_1) | instskip(NEXT) | instid1(VALU_DEP_1)
	v_mul_hi_u32 v4, v5, v4
	v_mul_lo_u32 v7, v4, s18
	v_add_nc_u32_e32 v8, 1, v4
	s_delay_alu instid0(VALU_DEP_2) | instskip(NEXT) | instid1(VALU_DEP_1)
	v_sub_nc_u32_e32 v7, v5, v7
	v_subrev_nc_u32_e32 v9, s18, v7
	v_cmp_le_u32_e32 vcc_lo, s18, v7
	s_wait_alu 0xfffd
	s_delay_alu instid0(VALU_DEP_2) | instskip(NEXT) | instid1(VALU_DEP_1)
	v_dual_cndmask_b32 v7, v7, v9 :: v_dual_cndmask_b32 v4, v4, v8
	v_cmp_le_u32_e32 vcc_lo, s18, v7
	s_delay_alu instid0(VALU_DEP_2) | instskip(SKIP_1) | instid1(VALU_DEP_1)
	v_add_nc_u32_e32 v8, 1, v4
	s_wait_alu 0xfffd
	v_dual_cndmask_b32 v7, v4, v8 :: v_dual_mov_b32 v8, v3
.LBB0_6:                                ;   in Loop: Header=BB0_2 Depth=1
	s_wait_alu 0xfffe
	s_or_b32 exec_lo, exec_lo, s2
	s_load_b64 s[20:21], s[12:13], 0x0
	s_delay_alu instid0(VALU_DEP_1)
	v_mul_lo_u32 v4, v8, s18
	v_mul_lo_u32 v11, v7, s19
	v_mad_co_u64_u32 v[9:10], null, v7, s18, 0
	s_add_nc_u64 s[14:15], s[14:15], 1
	s_add_nc_u64 s[12:13], s[12:13], 8
	s_wait_alu 0xfffe
	v_cmp_ge_u64_e64 s2, s[14:15], s[6:7]
	s_add_nc_u64 s[16:17], s[16:17], 8
	s_delay_alu instid0(VALU_DEP_2) | instskip(NEXT) | instid1(VALU_DEP_3)
	v_add3_u32 v4, v10, v11, v4
	v_sub_co_u32 v5, vcc_lo, v5, v9
	s_wait_alu 0xfffd
	s_delay_alu instid0(VALU_DEP_2) | instskip(SKIP_3) | instid1(VALU_DEP_2)
	v_sub_co_ci_u32_e32 v4, vcc_lo, v6, v4, vcc_lo
	s_and_b32 vcc_lo, exec_lo, s2
	s_wait_kmcnt 0x0
	v_mul_lo_u32 v6, s21, v5
	v_mul_lo_u32 v4, s20, v4
	v_mad_co_u64_u32 v[1:2], null, s20, v5, v[1:2]
	s_delay_alu instid0(VALU_DEP_1)
	v_add3_u32 v2, v6, v2, v4
	s_wait_alu 0xfffe
	s_cbranch_vccnz .LBB0_9
; %bb.7:                                ;   in Loop: Header=BB0_2 Depth=1
	v_dual_mov_b32 v5, v7 :: v_dual_mov_b32 v6, v8
	s_branch .LBB0_2
.LBB0_8:
	v_dual_mov_b32 v8, v6 :: v_dual_mov_b32 v7, v5
.LBB0_9:
	s_lshl_b64 s[2:3], s[6:7], 3
	v_mul_hi_u32 v5, 0x2d82d83, v0
	s_wait_alu 0xfffe
	s_add_nc_u64 s[2:3], s[10:11], s[2:3]
                                        ; implicit-def: $vgpr34
                                        ; implicit-def: $vgpr42
                                        ; implicit-def: $vgpr16
                                        ; implicit-def: $vgpr54
                                        ; implicit-def: $vgpr52
                                        ; implicit-def: $vgpr14
                                        ; implicit-def: $vgpr62
                                        ; implicit-def: $vgpr76
                                        ; implicit-def: $vgpr66
                                        ; implicit-def: $vgpr80
                                        ; implicit-def: $vgpr18
                                        ; implicit-def: $vgpr74
                                        ; implicit-def: $vgpr64
                                        ; implicit-def: $vgpr28
                                        ; implicit-def: $vgpr84
                                        ; implicit-def: $vgpr72
                                        ; implicit-def: $vgpr30
                                        ; implicit-def: $vgpr70
                                        ; implicit-def: $vgpr78
                                        ; implicit-def: $vgpr24
                                        ; implicit-def: $vgpr82
                                        ; implicit-def: $vgpr86
                                        ; implicit-def: $vgpr20
                                        ; implicit-def: $vgpr10
                                        ; implicit-def: $vgpr22
                                        ; implicit-def: $vgpr68
                                        ; implicit-def: $vgpr88
                                        ; implicit-def: $vgpr26
	s_load_b64 s[2:3], s[2:3], 0x0
	s_load_b64 s[0:1], s[0:1], 0x20
	s_wait_kmcnt 0x0
	v_mul_lo_u32 v3, s2, v8
	v_mul_lo_u32 v4, s3, v7
	v_mad_co_u64_u32 v[1:2], null, s2, v7, v[1:2]
	v_cmp_gt_u64_e32 vcc_lo, s[0:1], v[7:8]
                                        ; implicit-def: $vgpr8
	s_delay_alu instid0(VALU_DEP_2) | instskip(SKIP_1) | instid1(VALU_DEP_2)
	v_add3_u32 v2, v4, v2, v3
	v_mul_u32_u24_e32 v3, 0x5a, v5
                                        ; implicit-def: $vgpr5
	v_lshlrev_b64_e32 v[1:2], 3, v[1:2]
	s_delay_alu instid0(VALU_DEP_2)
	v_sub_nc_u32_e32 v3, v0, v3
	s_and_saveexec_b32 s1, vcc_lo
; %bb.10:
	v_mov_b32_e32 v4, 0
	s_delay_alu instid0(VALU_DEP_3) | instskip(SKIP_2) | instid1(VALU_DEP_3)
	v_add_co_u32 v0, s0, s8, v1
	s_wait_alu 0xf1ff
	v_add_co_ci_u32_e64 v6, s0, s9, v2, s0
	v_lshlrev_b64_e32 v[4:5], 3, v[3:4]
	s_delay_alu instid0(VALU_DEP_1) | instskip(SKIP_1) | instid1(VALU_DEP_2)
	v_add_co_u32 v11, s0, v0, v4
	s_wait_alu 0xf1ff
	v_add_co_ci_u32_e64 v12, s0, v6, v5, s0
	s_clause 0x1d
	global_load_b64 v[4:5], v[11:12], off offset:7920
	global_load_b64 v[25:26], v[11:12], off
	global_load_b64 v[21:22], v[11:12], off offset:720
	global_load_b64 v[19:20], v[11:12], off offset:1440
	global_load_b64 v[23:24], v[11:12], off offset:2160
	global_load_b64 v[67:68], v[11:12], off offset:14400
	global_load_b64 v[9:10], v[11:12], off offset:15120
	global_load_b64 v[81:82], v[11:12], off offset:15840
	global_load_b64 v[69:70], v[11:12], off offset:16560
	global_load_b64 v[85:86], v[11:12], off offset:8640
	global_load_b64 v[77:78], v[11:12], off offset:9360
	global_load_b64 v[71:72], v[11:12], off offset:10080
	global_load_b64 v[63:64], v[11:12], off offset:10800
	global_load_b64 v[29:30], v[11:12], off offset:2880
	global_load_b64 v[27:28], v[11:12], off offset:3600
	global_load_b64 v[17:18], v[11:12], off offset:4320
	global_load_b64 v[7:8], v[11:12], off offset:5040
	global_load_b64 v[83:84], v[11:12], off offset:17280
	global_load_b64 v[73:74], v[11:12], off offset:18000
	global_load_b64 v[65:66], v[11:12], off offset:18720
	global_load_b64 v[61:62], v[11:12], off offset:19440
	global_load_b64 v[13:14], v[11:12], off offset:5760
	global_load_b64 v[87:88], v[11:12], off offset:7200
	global_load_b64 v[15:16], v[11:12], off offset:6480
	global_load_b64 v[79:80], v[11:12], off offset:11520
	global_load_b64 v[75:76], v[11:12], off offset:12240
	global_load_b64 v[51:52], v[11:12], off offset:12960
	global_load_b64 v[41:42], v[11:12], off offset:13680
	global_load_b64 v[53:54], v[11:12], off offset:20160
	global_load_b64 v[33:34], v[11:12], off offset:20880
; %bb.11:
	s_wait_alu 0xfffe
	s_or_b32 exec_lo, exec_lo, s1
	s_wait_loadcnt 0x7
	v_dual_add_f32 v0, v67, v87 :: v_dual_sub_f32 v11, v88, v68
	s_wait_loadcnt 0x5
	v_dual_add_f32 v6, v87, v25 :: v_dual_add_f32 v39, v65, v79
	v_mad_u32_u24 v104, v3, 12, 0
	s_delay_alu instid0(VALU_DEP_3) | instskip(SKIP_4) | instid1(VALU_DEP_4)
	v_fmac_f32_e32 v25, -0.5, v0
	v_add_f32_e32 v12, v9, v4
	v_dual_add_f32 v0, v4, v21 :: v_dual_sub_f32 v31, v5, v10
	v_add_f32_e32 v6, v67, v6
	v_add_f32_e32 v37, v63, v27
	v_fmac_f32_e32 v21, -0.5, v12
	v_fmamk_f32 v12, v11, 0xbf5db3d7, v25
	v_fmac_f32_e32 v25, 0x3f5db3d7, v11
	v_add_f32_e32 v11, v5, v22
	v_add_f32_e32 v0, v9, v0
	v_dual_fmamk_f32 v32, v31, 0xbf5db3d7, v21 :: v_dual_add_f32 v35, v81, v85
	v_fmac_f32_e32 v21, 0x3f5db3d7, v31
	v_add_f32_e32 v5, v10, v5
	v_add_f32_e32 v103, v10, v11
	;; [unrolled: 1-line block ×4, first 2 shown]
	v_fmac_f32_e32 v19, -0.5, v35
	v_dual_sub_f32 v11, v86, v82 :: v_dual_add_f32 v36, v71, v29
	v_fmac_f32_e32 v22, -0.5, v5
	v_dual_sub_f32 v9, v4, v9 :: v_dual_add_f32 v4, v81, v10
	s_delay_alu instid0(VALU_DEP_3)
	v_dual_add_f32 v5, v77, v23 :: v_dual_add_f32 v36, v83, v36
	v_dual_sub_f32 v10, v78, v70 :: v_dual_fmac_f32 v23, -0.5, v31
	v_add_f32_e32 v40, v79, v17
	v_fmamk_f32 v31, v11, 0xbf5db3d7, v19
	v_fmac_f32_e32 v19, 0x3f5db3d7, v11
	v_add_f32_e32 v11, v83, v71
	v_fmamk_f32 v35, v10, 0xbf5db3d7, v23
	v_dual_fmac_f32 v23, 0x3f5db3d7, v10 :: v_dual_add_f32 v10, v73, v63
	v_fmac_f32_e32 v17, -0.5, v39
	v_sub_f32_e32 v39, v80, v66
	v_dual_fmac_f32 v29, -0.5, v11 :: v_dual_add_nc_u32 v106, 0x870, v104
	v_sub_f32_e32 v11, v72, v84
	v_dual_fmac_f32 v27, -0.5, v10 :: v_dual_add_nc_u32 v108, 0x10e0, v104
	v_dual_sub_f32 v10, v64, v74 :: v_dual_add_nc_u32 v105, 0x438, v104
	v_dual_fmamk_f32 v44, v39, 0xbf5db3d7, v17 :: v_dual_add_f32 v5, v69, v5
	s_delay_alu instid0(VALU_DEP_4)
	v_fmamk_f32 v38, v11, 0xbf5db3d7, v29
	v_add_nc_u32_e32 v107, 0xca8, v104
	v_fmac_f32_e32 v29, 0x3f5db3d7, v11
	v_dual_add_f32 v11, v73, v37 :: v_dual_add_nc_u32 v110, 0x1954, v104
	v_fmamk_f32 v37, v10, 0xbf5db3d7, v27
	v_dual_fmac_f32 v27, 0x3f5db3d7, v10 :: v_dual_add_f32 v10, v65, v40
	s_wait_loadcnt 0x4
	v_add_f32_e32 v40, v75, v7
	ds_store_2addr_b32 v105, v0, v32 offset1:1
	ds_store_2addr_b32 v106, v4, v31 offset1:1
	;; [unrolled: 1-line block ×4, first 2 shown]
	v_lshl_add_u32 v0, v3, 2, 0
	v_add_f32_e32 v43, v61, v75
	s_wait_loadcnt 0x1
	v_add_f32_e32 v45, v53, v51
	v_add_nc_u32_e32 v109, 0x151c, v104
	v_dual_sub_f32 v69, v77, v69 :: v_dual_add_nc_u32 v94, 0x800, v0
	v_add_nc_u32_e32 v92, 0x1000, v0
	v_fmac_f32_e32 v17, 0x3f5db3d7, v39
	v_dual_add_f32 v39, v61, v40 :: v_dual_add_f32 v40, v51, v13
	ds_store_2addr_b32 v104, v6, v12 offset1:1
	ds_store_b32 v104, v25 offset:8
	ds_store_b32 v104, v21 offset:1088
	;; [unrolled: 1-line block ×6, first 2 shown]
	ds_store_2addr_b32 v109, v37, v27 offset1:1
	ds_store_b32 v104, v10 offset:6480
	v_add_f32_e32 v27, v70, v78
	v_sub_f32_e32 v63, v63, v73
	v_add_f32_e32 v29, v78, v24
	v_add_f32_e32 v78, v84, v72
	v_dual_fmac_f32 v7, -0.5, v43 :: v_dual_add_nc_u32 v96, 0x1200, v0
	v_dual_sub_f32 v43, v76, v62 :: v_dual_add_nc_u32 v98, 0x1800, v0
	v_dual_add_f32 v47, v41, v15 :: v_dual_add_nc_u32 v100, 0x400, v0
	v_add_nc_u32_e32 v90, 0xc00, v0
	v_fmac_f32_e32 v24, -0.5, v27
	v_dual_add_f32 v70, v70, v29 :: v_dual_add_f32 v29, v68, v88
	v_sub_f32_e32 v65, v79, v65
	v_add_f32_e32 v27, v72, v30
	v_dual_fmac_f32 v30, -0.5, v78 :: v_dual_sub_f32 v61, v75, v61
	v_sub_f32_e32 v71, v71, v83
	v_fmac_f32_e32 v13, -0.5, v45
	v_dual_sub_f32 v45, v52, v54 :: v_dual_fmamk_f32 v46, v43, 0xbf5db3d7, v7
	v_fmac_f32_e32 v7, 0x3f5db3d7, v43
	s_wait_loadcnt 0x0
	v_dual_add_f32 v43, v33, v41 :: v_dual_add_nc_u32 v102, 0x2600, v0
	v_dual_add_f32 v77, v84, v27 :: v_dual_fmamk_f32 v78, v71, 0x3f5db3d7, v30
	v_dual_fmamk_f32 v48, v45, 0xbf5db3d7, v13 :: v_dual_add_f32 v79, v76, v8
	v_fmac_f32_e32 v13, 0x3f5db3d7, v45
	v_add_f32_e32 v45, v33, v47
	v_sub_f32_e32 v41, v41, v33
	v_dual_add_f32 v27, v88, v26 :: v_dual_fmac_f32 v26, -0.5, v29
	v_add_f32_e32 v29, v62, v76
	v_fmac_f32_e32 v15, -0.5, v43
	s_delay_alu instid0(VALU_DEP_3) | instskip(SKIP_1) | instid1(VALU_DEP_4)
	v_dual_sub_f32 v43, v42, v34 :: v_dual_add_f32 v68, v68, v27
	v_add_f32_e32 v23, v86, v20
	v_dual_add_f32 v27, v74, v64 :: v_dual_fmac_f32 v8, -0.5, v29
	v_add_f32_e32 v29, v34, v42
	v_add_f32_e32 v42, v42, v16
	v_add_nc_u32_e32 v19, 0x1d8c, v104
	v_add_nc_u32_e32 v91, 0x200, v0
	v_add_f32_e32 v40, v53, v40
	ds_store_2addr_b32 v110, v44, v17 offset1:1
	v_dual_fmac_f32 v16, -0.5, v29 :: v_dual_add_nc_u32 v17, 0x21c4, v104
	v_add_nc_u32_e32 v95, 0xa00, v0
	v_add_f32_e32 v73, v80, v18
	v_fmamk_f32 v47, v43, 0xbf5db3d7, v15
	v_fmac_f32_e32 v15, 0x3f5db3d7, v43
	v_dual_add_f32 v42, v34, v42 :: v_dual_add_nc_u32 v21, 0x25fc, v104
	v_dual_sub_f32 v25, v85, v81 :: v_dual_fmac_f32 v30, 0xbf5db3d7, v71
	v_dual_add_f32 v23, v82, v23 :: v_dual_fmamk_f32 v72, v69, 0x3f5db3d7, v24
	v_sub_f32_e32 v67, v87, v67
	v_add_f32_e32 v62, v62, v79
	ds_store_b32 v104, v39 offset:7560
	ds_store_2addr_b32 v19, v46, v7 offset1:1
	ds_store_b32 v104, v40 offset:8640
	ds_store_2addr_b32 v17, v48, v13 offset1:1
	;; [unrolled: 2-line block ×3, first 2 shown]
	global_wb scope:SCOPE_SE
	s_wait_dscnt 0x0
	s_barrier_signal -1
	s_barrier_wait -1
	global_inv scope:SCOPE_SE
	ds_load_2addr_b32 v[4:5], v0 offset1:90
	ds_load_2addr_b32 v[6:7], v91 offset0:52 offset1:142
	ds_load_2addr_b32 v[57:58], v94 offset0:28 offset1:118
	;; [unrolled: 1-line block ×4, first 2 shown]
	v_dual_add_f32 v15, v82, v86 :: v_dual_add_f32 v82, v64, v28
	v_dual_fmac_f32 v28, -0.5, v27 :: v_dual_add_f32 v27, v54, v52
	v_dual_add_f32 v52, v52, v14 :: v_dual_add_nc_u32 v89, 0x1c00, v0
	v_add_nc_u32_e32 v97, 0x2000, v0
	v_add_nc_u32_e32 v99, 0x2400, v0
	;; [unrolled: 1-line block ×4, first 2 shown]
	ds_load_2addr_b32 v[45:46], v96 offset0:108 offset1:198
	ds_load_2addr_b32 v[43:44], v98 offset0:84 offset1:174
	;; [unrolled: 1-line block ×10, first 2 shown]
	v_add_f32_e32 v64, v74, v82
	v_add_f32_e32 v74, v66, v80
	;; [unrolled: 1-line block ×3, first 2 shown]
	v_dual_fmac_f32 v14, -0.5, v27 :: v_dual_sub_f32 v27, v51, v53
	v_dual_add_f32 v51, v54, v52 :: v_dual_fmamk_f32 v54, v41, 0x3f5db3d7, v16
	v_fmac_f32_e32 v16, 0xbf5db3d7, v41
	v_fmamk_f32 v73, v67, 0x3f5db3d7, v26
	v_fmac_f32_e32 v26, 0xbf5db3d7, v67
	v_fmac_f32_e32 v20, -0.5, v15
	v_add_nc_u32_e32 v33, 0x5a, v3
	v_fmamk_f32 v15, v9, 0x3f5db3d7, v22
	global_wb scope:SCOPE_SE
	s_wait_dscnt 0x0
	s_barrier_signal -1
	v_fmamk_f32 v81, v25, 0x3f5db3d7, v20
	v_fmac_f32_e32 v20, 0xbf5db3d7, v25
	v_and_b32_e32 v25, 0xff, v3
	s_barrier_wait -1
	global_inv scope:SCOPE_SE
	v_fmac_f32_e32 v18, -0.5, v74
	v_fmac_f32_e32 v22, 0xbf5db3d7, v9
	v_mul_lo_u16 v52, 0xab, v25
	v_fmac_f32_e32 v24, 0xbf5db3d7, v69
	v_fmamk_f32 v9, v63, 0x3f5db3d7, v28
	v_fmac_f32_e32 v28, 0xbf5db3d7, v63
	v_fmamk_f32 v63, v65, 0x3f5db3d7, v18
	v_lshrrev_b16 v29, 9, v52
	v_fmamk_f32 v52, v27, 0x3f5db3d7, v14
	v_fmac_f32_e32 v14, 0xbf5db3d7, v27
	v_and_b32_e32 v27, 0xff, v33
	ds_store_2addr_b32 v105, v103, v15 offset1:1
	ds_store_2addr_b32 v106, v23, v81 offset1:1
	;; [unrolled: 1-line block ×4, first 2 shown]
	v_mul_lo_u16 v34, v29, 3
	ds_store_2addr_b32 v104, v68, v73 offset1:1
	ds_store_b32 v104, v26 offset:8
	ds_store_b32 v104, v22 offset:1088
	;; [unrolled: 1-line block ×6, first 2 shown]
	ds_store_2addr_b32 v109, v9, v28 offset1:1
	v_fmac_f32_e32 v18, 0xbf5db3d7, v65
	v_mul_lo_u16 v23, 0xab, v27
	v_fmamk_f32 v53, v61, 0x3f5db3d7, v8
	v_sub_nc_u16 v15, v3, v34
	v_add_nc_u32_e32 v34, 0xb4, v3
	v_fmac_f32_e32 v8, 0xbf5db3d7, v61
	v_lshrrev_b16 v28, 9, v23
	ds_store_b32 v104, v66 offset:6480
	ds_store_2addr_b32 v110, v63, v18 offset1:1
	v_and_b32_e32 v30, 0xff, v15
	v_and_b32_e32 v24, 0xffff, v34
	ds_store_b32 v104, v62 offset:7560
	ds_store_2addr_b32 v19, v53, v8 offset1:1
	v_mul_lo_u16 v15, v28, 3
	ds_store_b32 v104, v51 offset:8640
	v_mul_u32_u24_e32 v8, 9, v30
	v_mul_u32_u24_e32 v9, 0xaaab, v24
	ds_store_2addr_b32 v17, v52, v14 offset1:1
	ds_store_b32 v104, v42 offset:9720
	ds_store_2addr_b32 v21, v54, v16 offset1:1
	global_wb scope:SCOPE_SE
	s_wait_dscnt 0x0
	s_barrier_signal -1
	v_lshlrev_b32_e32 v8, 3, v8
	v_lshrrev_b32_e32 v26, 17, v9
	v_sub_nc_u16 v9, v33, v15
	s_barrier_wait -1
	global_inv scope:SCOPE_SE
	global_load_b128 v[18:21], v8, s[4:5]
	v_mul_lo_u16 v14, v26, 3
	v_and_b32_e32 v41, 0xff, v9
	v_mul_u32_u24_e32 v24, 0x8889, v24
	s_delay_alu instid0(VALU_DEP_3) | instskip(NEXT) | instid1(VALU_DEP_3)
	v_sub_nc_u16 v9, v34, v14
	v_mul_u32_u24_e32 v14, 9, v41
	s_delay_alu instid0(VALU_DEP_3) | instskip(NEXT) | instid1(VALU_DEP_3)
	v_lshrrev_b32_e32 v24, 20, v24
	v_and_b32_e32 v42, 0xffff, v9
	s_delay_alu instid0(VALU_DEP_3) | instskip(NEXT) | instid1(VALU_DEP_2)
	v_lshlrev_b32_e32 v9, 3, v14
	v_mul_u32_u24_e32 v14, 9, v42
	global_load_b128 v[63:66], v9, s[4:5]
	v_lshlrev_b32_e32 v14, 3, v14
	s_clause 0xc
	global_load_b128 v[74:77], v14, s[4:5]
	global_load_b128 v[81:84], v8, s[4:5] offset:16
	global_load_b128 v[85:88], v8, s[4:5] offset:32
	;; [unrolled: 1-line block ×9, first 2 shown]
	global_load_b64 v[22:23], v14, s[4:5] offset:64
	global_load_b64 v[16:17], v8, s[4:5] offset:64
	global_load_b64 v[14:15], v9, s[4:5] offset:64
	ds_load_2addr_b32 v[8:9], v91 offset0:52 offset1:142
	ds_load_2addr_b32 v[51:52], v94 offset0:28 offset1:118
	;; [unrolled: 1-line block ×10, first 2 shown]
	s_wait_loadcnt_dscnt 0xe09
	v_mul_f32_e32 v61, v9, v19
	v_mul_f32_e32 v19, v7, v19
	s_wait_dscnt 0x8
	v_mul_f32_e32 v72, v51, v21
	v_mul_f32_e32 v21, v57, v21
	v_fmac_f32_e32 v61, v7, v18
	v_fma_f32 v62, v9, v18, -v19
	s_wait_loadcnt 0xd
	v_dual_fmac_f32 v72, v57, v20 :: v_dual_mul_f32 v7, v58, v66
	v_mul_f32_e32 v53, v52, v66
	v_mul_f32_e32 v9, v59, v64
	s_wait_loadcnt_dscnt 0xa03
	v_dual_mul_f32 v73, v67, v64 :: v_dual_mul_f32 v66, v136, v86
	v_fma_f32 v54, v52, v65, -v7
	v_mul_f32_e32 v52, v69, v77
	v_fma_f32 v80, v67, v63, -v9
	v_mul_f32_e32 v67, v70, v82
	v_mul_f32_e32 v9, v60, v75
	v_fmac_f32_e32 v73, v59, v63
	v_dual_fmac_f32 v52, v55, v76 :: v_dual_mul_f32 v57, v56, v82
	s_wait_loadcnt 0x7
	v_mul_f32_e32 v82, v45, v114
	ds_load_2addr_b32 v[145:146], v93 offset0:60 offset1:150
	v_mul_f32_e32 v7, v68, v75
	v_fma_f32 v9, v68, v74, -v9
	v_mul_f32_e32 v59, v46, v86
	v_fmac_f32_e32 v67, v56, v81
	v_mul_f32_e32 v56, v40, v104
	v_dual_fmac_f32 v7, v60, v74 :: v_dual_mul_f32 v74, v131, v84
	v_fmac_f32_e32 v66, v46, v85
	s_wait_loadcnt_dscnt 0x501
	v_mul_f32_e32 v46, v141, v122
	v_mul_f32_e32 v68, v142, v104
	;; [unrolled: 1-line block ×3, first 2 shown]
	v_fmac_f32_e32 v74, v35, v83
	ds_load_2addr_b32 v[143:144], v97 offset0:112 offset1:202
	v_fmac_f32_e32 v46, v39, v121
	v_fmac_f32_e32 v53, v58, v65
	v_fma_f32 v65, v70, v81, -v57
	v_fma_f32 v70, v142, v103, -v56
	v_mul_f32_e32 v56, v139, v116
	v_fmac_f32_e32 v68, v40, v103
	v_mul_f32_e32 v40, v140, v120
	v_dual_mul_f32 v60, v43, v88 :: v_dual_mul_f32 v57, v37, v106
	s_delay_alu instid0(VALU_DEP_4)
	v_fmac_f32_e32 v56, v47, v115
	v_fma_f32 v71, v51, v20, -v21
	ds_load_2addr_b32 v[20:21], v102 offset0:88 offset1:178
	v_dual_mul_f32 v51, v55, v77 :: v_dual_fmac_f32 v40, v48, v119
	v_mul_f32_e32 v55, v133, v108
	v_mul_f32_e32 v58, v35, v84
	v_fma_f32 v78, v137, v87, -v60
	s_delay_alu instid0(VALU_DEP_4)
	v_fma_f32 v51, v69, v76, -v51
	v_fma_f32 v69, v136, v85, -v59
	v_fmac_f32_e32 v55, v49, v107
	v_fma_f32 v49, v133, v107, -v64
	s_wait_loadcnt_dscnt 0x401
	v_mul_f32_e32 v64, v144, v126
	v_fma_f32 v81, v143, v105, -v57
	v_mul_f32_e32 v60, v138, v118
	v_mul_f32_e32 v85, v38, v126
	s_delay_alu instid0(VALU_DEP_4)
	v_dual_mul_f32 v57, v145, v124 :: v_dual_fmac_f32 v64, v38, v125
	s_wait_loadcnt 0x3
	v_mul_f32_e32 v38, v146, v128
	v_fma_f32 v76, v131, v83, -v58
	v_mul_f32_e32 v58, v132, v110
	ds_load_2addr_b32 v[18:19], v99 offset0:36 offset1:126
	v_mul_f32_e32 v83, v44, v118
	v_fmac_f32_e32 v60, v44, v117
	v_mul_f32_e32 v44, v31, v124
	v_fmac_f32_e32 v57, v31, v123
	v_mul_f32_e32 v31, v32, v128
	v_fmac_f32_e32 v38, v32, v127
	s_wait_loadcnt_dscnt 0x201
	v_mul_f32_e32 v32, v21, v23
	v_mul_f32_e32 v23, v11, v23
	v_mul_f32_e32 v77, v50, v112
	v_mul_f32_e32 v84, v47, v116
	v_fmac_f32_e32 v58, v36, v109
	v_fmac_f32_e32 v32, v11, v22
	v_fma_f32 v11, v21, v22, -v23
	v_dual_mul_f32 v35, v134, v112 :: v_dual_sub_f32 v112, v76, v78
	v_fma_f32 v47, v139, v115, -v84
	v_fma_f32 v31, v146, v127, -v31
	v_mul_f32_e32 v75, v137, v88
	s_delay_alu instid0(VALU_DEP_4) | instskip(SKIP_4) | instid1(VALU_DEP_4)
	v_fmac_f32_e32 v35, v50, v111
	v_mul_f32_e32 v79, v143, v106
	v_fma_f32 v50, v138, v117, -v83
	v_sub_f32_e32 v104, v31, v11
	v_add_f32_e32 v116, v5, v53
	v_dual_sub_f32 v84, v40, v35 :: v_dual_fmac_f32 v79, v37, v105
	v_fma_f32 v37, v134, v111, -v77
	v_mul_f32_e32 v63, v36, v110
	v_mul_f32_e32 v36, v48, v120
	v_fma_f32 v48, v145, v123, -v44
	s_wait_dscnt 0x0
	v_mul_f32_e32 v44, v18, v130
	v_add_f32_e32 v86, v37, v11
	v_fma_f32 v59, v132, v109, -v63
	v_fma_f32 v36, v140, v119, -v36
	s_wait_loadcnt 0x0
	v_mul_f32_e32 v111, v20, v15
	v_fmac_f32_e32 v44, v12, v129
	v_dual_add_f32 v83, v9, v37 :: v_dual_add_f32 v22, v6, v52
	v_sub_f32_e32 v103, v36, v37
	v_add_f32_e32 v21, v40, v38
	s_delay_alu instid0(VALU_DEP_4) | instskip(SKIP_1) | instid1(VALU_DEP_4)
	v_sub_f32_e32 v109, v46, v44
	v_dual_mul_f32 v63, v39, v122 :: v_dual_sub_f32 v106, v37, v11
	v_add_f32_e32 v103, v103, v104
	v_sub_f32_e32 v104, v35, v32
	v_mul_f32_e32 v77, v19, v17
	v_mul_f32_e32 v17, v13, v17
	v_fma_f32 v39, v141, v121, -v63
	v_fma_f32 v63, v144, v125, -v85
	s_delay_alu instid0(VALU_DEP_4)
	v_dual_sub_f32 v126, v59, v50 :: v_dual_fmac_f32 v77, v13, v16
	v_mul_f32_e32 v13, v10, v15
	v_fma_f32 v16, v19, v16, -v17
	v_sub_f32_e32 v19, v71, v81
	v_fmac_f32_e32 v111, v10, v14
	v_sub_f32_e32 v85, v38, v32
	v_fma_f32 v17, v20, v14, -v13
	v_add_f32_e32 v23, v36, v31
	v_fmac_f32_e32 v75, v43, v87
	v_add_f32_e32 v20, v72, v79
	v_add_f32_e32 v88, v84, v85
	v_add_f32_e32 v122, v49, v17
	v_fma_f32 v23, -0.5, v23, v9
	v_dual_fmac_f32 v9, -0.5, v86 :: v_dual_sub_f32 v124, v48, v17
	v_sub_f32_e32 v86, v40, v38
	v_mul_f32_e32 v43, v135, v114
	v_dual_sub_f32 v14, v79, v75 :: v_dual_sub_f32 v13, v72, v74
	v_fma_f32 v20, -0.5, v20, v4
	s_delay_alu instid0(VALU_DEP_4) | instskip(NEXT) | instid1(VALU_DEP_4)
	v_fmamk_f32 v84, v86, 0xbf737871, v9
	v_fmac_f32_e32 v43, v45, v113
	v_fma_f32 v45, v135, v113, -v82
	v_mul_f32_e32 v82, v12, v130
	v_sub_f32_e32 v105, v36, v31
	v_dual_fmac_f32 v9, 0x3f737871, v86 :: v_dual_sub_f32 v132, v49, v17
	v_sub_f32_e32 v108, v43, v52
	s_delay_alu instid0(VALU_DEP_4) | instskip(SKIP_3) | instid1(VALU_DEP_3)
	v_fma_f32 v12, v18, v129, -v82
	v_add_f32_e32 v18, v43, v46
	v_dual_add_f32 v82, v52, v44 :: v_dual_add_f32 v87, v7, v35
	v_dual_sub_f32 v118, v60, v64 :: v_dual_add_f32 v15, v74, v75
	v_fma_f32 v18, -0.5, v18, v6
	s_delay_alu instid0(VALU_DEP_3)
	v_fmac_f32_e32 v6, -0.5, v82
	v_dual_add_f32 v82, v35, v32 :: v_dual_add_f32 v113, v13, v14
	v_add_f32_e32 v13, v58, v60
	v_add_f32_e32 v14, v53, v64
	v_sub_f32_e32 v114, v74, v72
	v_fma_f32 v21, -0.5, v21, v7
	v_fmac_f32_e32 v7, -0.5, v82
	v_fmamk_f32 v135, v112, 0x3f737871, v20
	v_dual_fmac_f32 v20, 0xbf737871, v112 :: v_dual_sub_f32 v107, v45, v39
	s_delay_alu instid0(VALU_DEP_3)
	v_dual_sub_f32 v110, v51, v12 :: v_dual_fmamk_f32 v85, v105, 0x3f737871, v7
	v_fmac_f32_e32 v7, 0xbf737871, v105
	v_fma_f32 v15, -0.5, v15, v4
	v_fma_f32 v115, -0.5, v13, v5
	v_dual_fmac_f32 v20, 0x3f167918, v19 :: v_dual_fmac_f32 v5, -0.5, v14
	v_sub_f32_e32 v129, v55, v111
	v_fmac_f32_e32 v9, 0xbf167918, v104
	v_add_f32_e32 v4, v4, v72
	v_fmamk_f32 v82, v107, 0x3f737871, v6
	v_fmac_f32_e32 v6, 0xbf737871, v107
	v_dual_fmac_f32 v7, 0x3f167918, v106 :: v_dual_sub_f32 v134, v75, v79
	v_fmac_f32_e32 v9, 0x3e9e377a, v103
	v_dual_sub_f32 v117, v58, v53 :: v_dual_add_f32 v4, v4, v74
	v_fmamk_f32 v130, v126, 0x3f737871, v5
	v_dual_fmac_f32 v5, 0xbf737871, v126 :: v_dual_sub_f32 v74, v74, v75
	v_dual_sub_f32 v133, v54, v63 :: v_dual_add_f32 v108, v108, v109
	v_fmac_f32_e32 v6, 0x3f167918, v110
	v_fmac_f32_e32 v7, 0x3e9e377a, v88
	v_mul_f32_e32 v109, 0xbf737871, v9
	v_add_f32_e32 v117, v117, v118
	v_fmac_f32_e32 v5, 0x3f167918, v133
	v_fmac_f32_e32 v6, 0x3e9e377a, v108
	v_add_f32_e32 v14, v55, v111
	v_dual_add_f32 v120, v73, v55 :: v_dual_sub_f32 v127, v47, v48
	s_delay_alu instid0(VALU_DEP_4) | instskip(SKIP_4) | instid1(VALU_DEP_4)
	v_fmac_f32_e32 v5, 0x3e9e377a, v117
	v_fmac_f32_e32 v109, 0xbe9e377a, v7
	v_add_f32_e32 v125, v80, v49
	v_add_f32_e32 v4, v4, v75
	v_dual_sub_f32 v136, v59, v54 :: v_dual_sub_f32 v139, v53, v64
	v_add_f32_e32 v10, v6, v109
	v_add_f32_e32 v13, v56, v57
	v_dual_sub_f32 v121, v57, v111 :: v_dual_sub_f32 v6, v6, v109
	v_fmamk_f32 v109, v19, 0xbf737871, v15
	v_fmac_f32_e32 v15, 0x3f737871, v19
	s_delay_alu instid0(VALU_DEP_4) | instskip(SKIP_1) | instid1(VALU_DEP_4)
	v_fma_f32 v119, -0.5, v13, v73
	v_dual_fmac_f32 v73, -0.5, v14 :: v_dual_sub_f32 v14, v56, v55
	v_fmac_f32_e32 v109, 0xbf167918, v112
	s_delay_alu instid0(VALU_DEP_4) | instskip(NEXT) | instid1(VALU_DEP_3)
	v_dual_fmac_f32 v15, 0x3f167918, v112 :: v_dual_add_f32 v112, v114, v134
	v_dual_fmamk_f32 v131, v127, 0x3f737871, v73 :: v_dual_add_f32 v4, v4, v79
	v_fmac_f32_e32 v73, 0xbf737871, v127
	v_dual_add_f32 v121, v14, v121 :: v_dual_add_f32 v114, v59, v50
	s_delay_alu instid0(VALU_DEP_4) | instskip(NEXT) | instid1(VALU_DEP_3)
	v_dual_sub_f32 v137, v50, v63 :: v_dual_fmac_f32 v20, 0x3e9e377a, v112
	v_fmac_f32_e32 v73, 0x3f167918, v132
	v_sub_f32_e32 v37, v37, v36
	v_dual_sub_f32 v35, v35, v40 :: v_dual_fmac_f32 v82, 0xbf167918, v110
	s_delay_alu instid0(VALU_DEP_3) | instskip(SKIP_2) | instid1(VALU_DEP_4)
	v_dual_add_f32 v36, v83, v36 :: v_dual_fmac_f32 v73, 0x3e9e377a, v121
	v_add_f32_e32 v13, v47, v48
	v_fmac_f32_e32 v84, 0x3f167918, v104
	v_fmac_f32_e32 v82, 0x3e9e377a, v108
	s_delay_alu instid0(VALU_DEP_3) | instskip(SKIP_3) | instid1(VALU_DEP_2)
	v_fma_f32 v123, -0.5, v13, v80
	v_fmac_f32_e32 v80, -0.5, v122
	v_sub_f32_e32 v122, v56, v57
	v_dual_sub_f32 v13, v47, v49 :: v_dual_fmac_f32 v84, 0x3e9e377a, v103
	v_fmamk_f32 v128, v122, 0xbf737871, v80
	v_fmac_f32_e32 v80, 0x3f737871, v122
	s_delay_alu instid0(VALU_DEP_3)
	v_add_f32_e32 v124, v13, v124
	ds_load_2addr_b32 v[13:14], v0 offset1:90
	global_wb scope:SCOPE_SE
	s_wait_dscnt 0x0
	s_barrier_signal -1
	v_fmac_f32_e32 v80, 0xbf167918, v129
	s_barrier_wait -1
	global_inv scope:SCOPE_SE
	v_fmac_f32_e32 v80, 0x3e9e377a, v124
	v_mul_f32_e32 v9, 0xbe9e377a, v9
	s_delay_alu instid0(VALU_DEP_2) | instskip(NEXT) | instid1(VALU_DEP_2)
	v_mul_f32_e32 v118, 0xbf737871, v80
	v_fmac_f32_e32 v9, 0x3f737871, v7
	s_delay_alu instid0(VALU_DEP_2) | instskip(SKIP_2) | instid1(VALU_DEP_3)
	v_fmac_f32_e32 v118, 0xbe9e377a, v73
	v_sub_f32_e32 v140, v68, v77
	v_fma_f32 v114, -0.5, v114, v14
	v_add_f32_e32 v134, v5, v118
	v_sub_f32_e32 v5, v5, v118
	v_dual_add_f32 v118, v14, v54 :: v_dual_fmac_f32 v135, 0xbf167918, v19
	v_add_f32_e32 v19, v54, v63
	s_delay_alu instid0(VALU_DEP_2) | instskip(NEXT) | instid1(VALU_DEP_2)
	v_dual_sub_f32 v54, v54, v59 :: v_dual_fmac_f32 v135, 0x3e9e377a, v112
	v_dual_fmac_f32 v14, -0.5, v19 :: v_dual_sub_f32 v19, v58, v60
	v_add_f32_e32 v112, v71, v81
	s_delay_alu instid0(VALU_DEP_2) | instskip(SKIP_2) | instid1(VALU_DEP_4)
	v_fmamk_f32 v138, v19, 0xbf737871, v14
	v_fmac_f32_e32 v14, 0x3f737871, v19
	v_fmac_f32_e32 v15, 0x3e9e377a, v113
	v_fma_f32 v112, -0.5, v112, v13
	s_delay_alu instid0(VALU_DEP_3) | instskip(SKIP_3) | instid1(VALU_DEP_2)
	v_fmac_f32_e32 v14, 0xbf167918, v139
	v_fmac_f32_e32 v109, 0x3e9e377a, v113
	v_dual_add_f32 v113, v136, v137 :: v_dual_mul_f32 v136, 0xbe9e377a, v80
	v_add_f32_e32 v80, v76, v78
	v_fmac_f32_e32 v14, 0x3e9e377a, v113
	s_delay_alu instid0(VALU_DEP_3) | instskip(NEXT) | instid1(VALU_DEP_3)
	v_fmac_f32_e32 v136, 0x3f737871, v73
	v_fma_f32 v137, -0.5, v80, v13
	s_delay_alu instid0(VALU_DEP_2) | instskip(SKIP_1) | instid1(VALU_DEP_2)
	v_dual_add_f32 v13, v13, v71 :: v_dual_add_f32 v80, v14, v136
	v_dual_sub_f32 v73, v14, v136 :: v_dual_sub_f32 v14, v72, v79
	v_add_f32_e32 v13, v13, v76
	v_dual_sub_f32 v72, v71, v76 :: v_dual_sub_f32 v71, v76, v71
	v_dual_sub_f32 v76, v78, v81 :: v_dual_sub_f32 v79, v77, v68
	s_delay_alu instid0(VALU_DEP_4) | instskip(SKIP_1) | instid1(VALU_DEP_3)
	v_dual_sub_f32 v136, v81, v78 :: v_dual_fmamk_f32 v75, v14, 0x3f737871, v137
	v_fmac_f32_e32 v137, 0xbf737871, v14
	v_add_f32_e32 v71, v71, v76
	v_sub_f32_e32 v76, v67, v66
	s_delay_alu instid0(VALU_DEP_4) | instskip(SKIP_2) | instid1(VALU_DEP_4)
	v_dual_add_f32 v72, v72, v136 :: v_dual_fmac_f32 v75, 0x3f167918, v74
	v_sub_f32_e32 v136, v69, v70
	v_fmac_f32_e32 v128, 0x3f167918, v129
	v_dual_add_f32 v76, v76, v79 :: v_dual_add_f32 v13, v13, v78
	v_fmamk_f32 v78, v74, 0xbf737871, v112
	v_fmac_f32_e32 v112, 0x3f737871, v74
	v_fmac_f32_e32 v75, 0x3e9e377a, v72
	;; [unrolled: 1-line block ×3, first 2 shown]
	v_add_f32_e32 v13, v13, v81
	v_dual_add_f32 v81, v61, v67 :: v_dual_fmac_f32 v78, 0x3f167918, v14
	v_fmac_f32_e32 v112, 0xbf167918, v14
	v_fmac_f32_e32 v128, 0x3e9e377a, v124
	s_delay_alu instid0(VALU_DEP_3) | instskip(NEXT) | instid1(VALU_DEP_4)
	v_dual_fmac_f32 v130, 0x3e9e377a, v117 :: v_dual_add_f32 v81, v81, v66
	v_fmac_f32_e32 v78, 0x3e9e377a, v71
	s_delay_alu instid0(VALU_DEP_2) | instskip(SKIP_2) | instid1(VALU_DEP_3)
	v_dual_fmac_f32 v112, 0x3e9e377a, v71 :: v_dual_add_f32 v71, v81, v68
	v_add_f32_e32 v81, v65, v16
	v_dual_fmac_f32 v137, 0xbf167918, v74 :: v_dual_add_f32 v74, v66, v68
	v_add_f32_e32 v71, v71, v77
	s_delay_alu instid0(VALU_DEP_2) | instskip(NEXT) | instid1(VALU_DEP_3)
	v_dual_fmac_f32 v137, 0x3e9e377a, v72 :: v_dual_add_f32 v72, v67, v77
	v_fma_f32 v14, -0.5, v74, v61
	v_sub_f32_e32 v74, v65, v16
	s_delay_alu instid0(VALU_DEP_1) | instskip(NEXT) | instid1(VALU_DEP_1)
	v_dual_fmac_f32 v61, -0.5, v72 :: v_dual_fmamk_f32 v72, v74, 0xbf737871, v14
	v_dual_fmac_f32 v14, 0x3f737871, v74 :: v_dual_fmamk_f32 v79, v136, 0x3f737871, v61
	v_fmac_f32_e32 v61, 0xbf737871, v136
	s_delay_alu instid0(VALU_DEP_3) | instskip(NEXT) | instid1(VALU_DEP_3)
	v_fmac_f32_e32 v72, 0xbf167918, v136
	v_fmac_f32_e32 v14, 0x3f167918, v136
	s_delay_alu instid0(VALU_DEP_4) | instskip(NEXT) | instid1(VALU_DEP_4)
	v_dual_sub_f32 v136, v66, v67 :: v_dual_fmac_f32 v79, 0xbf167918, v74
	v_fmac_f32_e32 v61, 0x3f167918, v74
	v_add_f32_e32 v74, v69, v70
	v_fmac_f32_e32 v72, 0x3e9e377a, v76
	v_dual_fmac_f32 v14, 0x3e9e377a, v76 :: v_dual_sub_f32 v67, v67, v77
	v_dual_sub_f32 v76, v65, v69 :: v_dual_sub_f32 v77, v16, v70
	s_delay_alu instid0(VALU_DEP_4) | instskip(SKIP_3) | instid1(VALU_DEP_4)
	v_fma_f32 v74, -0.5, v74, v62
	v_sub_f32_e32 v66, v66, v68
	v_add_f32_e32 v136, v136, v140
	v_fmac_f32_e32 v138, 0x3f167918, v139
	v_dual_add_f32 v68, v76, v77 :: v_dual_fmamk_f32 v77, v67, 0x3f737871, v74
	v_fmac_f32_e32 v74, 0xbf737871, v67
	s_delay_alu instid0(VALU_DEP_3) | instskip(NEXT) | instid1(VALU_DEP_3)
	v_fmac_f32_e32 v138, 0x3e9e377a, v113
	v_fmac_f32_e32 v77, 0x3f167918, v66
	s_delay_alu instid0(VALU_DEP_3) | instskip(NEXT) | instid1(VALU_DEP_2)
	v_fmac_f32_e32 v74, 0xbf167918, v66
	v_fmac_f32_e32 v77, 0x3e9e377a, v68
	s_delay_alu instid0(VALU_DEP_2) | instskip(SKIP_4) | instid1(VALU_DEP_3)
	v_fmac_f32_e32 v74, 0x3e9e377a, v68
	v_fmac_f32_e32 v79, 0x3e9e377a, v136
	v_dual_fmac_f32 v61, 0x3e9e377a, v136 :: v_dual_add_f32 v136, v62, v65
	v_fmac_f32_e32 v62, -0.5, v81
	v_sub_f32_e32 v65, v69, v65
	v_dual_add_f32 v76, v136, v69 :: v_dual_sub_f32 v69, v70, v16
	s_delay_alu instid0(VALU_DEP_3) | instskip(SKIP_2) | instid1(VALU_DEP_4)
	v_fmamk_f32 v81, v66, 0xbf737871, v62
	v_fmac_f32_e32 v62, 0x3f737871, v66
	v_mul_f32_e32 v66, 0xbf167918, v77
	v_add_f32_e32 v70, v76, v70
	s_delay_alu instid0(VALU_DEP_2) | instskip(NEXT) | instid1(VALU_DEP_2)
	v_fmac_f32_e32 v66, 0x3f4f1bbd, v72
	v_dual_fmac_f32 v81, 0x3f167918, v67 :: v_dual_add_f32 v16, v70, v16
	v_fmac_f32_e32 v62, 0xbf167918, v67
	v_mul_f32_e32 v67, 0x3f4f1bbd, v77
	v_mul_f32_e32 v70, 0xbf167918, v74
	s_delay_alu instid0(VALU_DEP_4) | instskip(NEXT) | instid1(VALU_DEP_3)
	v_sub_f32_e32 v76, v13, v16
	v_fmac_f32_e32 v67, 0x3f167918, v72
	v_dual_mul_f32 v72, 0xbf4f1bbd, v74 :: v_dual_add_f32 v65, v65, v69
	s_delay_alu instid0(VALU_DEP_4) | instskip(NEXT) | instid1(VALU_DEP_2)
	v_fmac_f32_e32 v70, 0xbf4f1bbd, v14
	v_fmac_f32_e32 v72, 0x3f167918, v14
	s_delay_alu instid0(VALU_DEP_3) | instskip(SKIP_3) | instid1(VALU_DEP_3)
	v_fmac_f32_e32 v81, 0x3e9e377a, v65
	v_fmac_f32_e32 v62, 0x3e9e377a, v65
	v_add_f32_e32 v14, v4, v71
	v_sub_f32_e32 v4, v4, v71
	v_dual_mul_f32 v68, 0xbf737871, v81 :: v_dual_mul_f32 v69, 0xbf737871, v62
	v_mul_f32_e32 v62, 0xbe9e377a, v62
	s_delay_alu instid0(VALU_DEP_2) | instskip(NEXT) | instid1(VALU_DEP_3)
	v_fmac_f32_e32 v68, 0x3e9e377a, v79
	v_fmac_f32_e32 v69, 0xbe9e377a, v61
	s_delay_alu instid0(VALU_DEP_3) | instskip(NEXT) | instid1(VALU_DEP_2)
	v_fmac_f32_e32 v62, 0x3f737871, v61
	v_add_f32_e32 v74, v20, v69
	v_dual_sub_f32 v20, v20, v69 :: v_dual_add_f32 v69, v15, v70
	v_dual_sub_f32 v15, v15, v70 :: v_dual_add_f32 v70, v13, v16
	v_dual_mul_f32 v65, 0x3e9e377a, v81 :: v_dual_sub_f32 v16, v53, v58
	v_sub_f32_e32 v53, v64, v60
	v_add_f32_e32 v61, v109, v66
	v_add_f32_e32 v13, v116, v58
	s_delay_alu instid0(VALU_DEP_4)
	v_fmac_f32_e32 v65, 0x3f737871, v79
	v_sub_f32_e32 v81, v112, v62
	v_dual_add_f32 v16, v16, v53 :: v_dual_add_f32 v53, v118, v59
	v_dual_add_f32 v77, v75, v67 :: v_dual_fmamk_f32 v58, v133, 0xbf737871, v115
	v_fmac_f32_e32 v115, 0x3f737871, v133
	v_sub_f32_e32 v59, v63, v50
	s_delay_alu instid0(VALU_DEP_4)
	v_add_f32_e32 v50, v53, v50
	v_add_f32_e32 v13, v13, v60
	v_dual_sub_f32 v60, v137, v72 :: v_dual_add_f32 v79, v78, v65
	v_dual_sub_f32 v65, v78, v65 :: v_dual_add_f32 v78, v112, v62
	v_fmamk_f32 v62, v139, 0x3f737871, v114
	v_dual_add_f32 v71, v135, v68 :: v_dual_fmac_f32 v58, 0xbf167918, v126
	v_fmac_f32_e32 v115, 0x3f167918, v126
	v_fmac_f32_e32 v114, 0xbf737871, v139
	v_add_f32_e32 v53, v54, v59
	v_fmac_f32_e32 v62, 0x3f167918, v19
	v_dual_fmamk_f32 v54, v132, 0xbf737871, v119 :: v_dual_sub_f32 v75, v75, v67
	v_fmac_f32_e32 v58, 0x3e9e377a, v16
	v_fmac_f32_e32 v114, 0xbf167918, v19
	s_delay_alu instid0(VALU_DEP_4) | instskip(NEXT) | instid1(VALU_DEP_4)
	v_dual_fmac_f32 v62, 0x3e9e377a, v53 :: v_dual_add_f32 v19, v120, v56
	v_fmac_f32_e32 v54, 0xbf167918, v127
	v_dual_fmac_f32 v115, 0x3e9e377a, v16 :: v_dual_add_f32 v16, v50, v63
	v_add_f32_e32 v13, v13, v64
	v_fmac_f32_e32 v131, 0xbf167918, v132
	v_fmac_f32_e32 v114, 0x3e9e377a, v53
	v_sub_f32_e32 v50, v55, v56
	v_sub_f32_e32 v53, v111, v57
	v_add_f32_e32 v19, v19, v57
	v_fmac_f32_e32 v131, 0x3e9e377a, v121
	v_fmac_f32_e32 v119, 0x3f737871, v132
	v_add_f32_e32 v112, v137, v72
	s_delay_alu instid0(VALU_DEP_4) | instskip(SKIP_1) | instid1(VALU_DEP_4)
	v_dual_add_f32 v50, v50, v53 :: v_dual_add_f32 v19, v19, v111
	v_sub_f32_e32 v53, v17, v48
	v_fmac_f32_e32 v119, 0x3f167918, v127
	v_fmamk_f32 v55, v129, 0x3f737871, v123
	s_delay_alu instid0(VALU_DEP_4) | instskip(SKIP_1) | instid1(VALU_DEP_4)
	v_dual_fmac_f32 v54, 0x3e9e377a, v50 :: v_dual_sub_f32 v49, v49, v47
	v_fmac_f32_e32 v123, 0xbf737871, v129
	v_dual_fmac_f32 v119, 0x3e9e377a, v50 :: v_dual_mul_f32 v50, 0x3e9e377a, v128
	v_sub_f32_e32 v66, v109, v66
	s_delay_alu instid0(VALU_DEP_4) | instskip(NEXT) | instid1(VALU_DEP_3)
	v_dual_add_f32 v49, v49, v53 :: v_dual_sub_f32 v68, v135, v68
	v_fmac_f32_e32 v50, 0x3f737871, v131
	s_delay_alu instid0(VALU_DEP_1) | instskip(NEXT) | instid1(VALU_DEP_1)
	v_dual_add_f32 v47, v125, v47 :: v_dual_add_f32 v72, v138, v50
	v_dual_add_f32 v47, v47, v48 :: v_dual_sub_f32 v50, v138, v50
	s_delay_alu instid0(VALU_DEP_1) | instskip(SKIP_1) | instid1(VALU_DEP_1)
	v_add_f32_e32 v17, v47, v17
	v_fmac_f32_e32 v55, 0x3f167918, v122
	v_fmac_f32_e32 v55, 0x3e9e377a, v49
	s_delay_alu instid0(VALU_DEP_1) | instskip(NEXT) | instid1(VALU_DEP_1)
	v_mul_f32_e32 v48, 0xbf167918, v55
	v_dual_mul_f32 v47, 0x3f4f1bbd, v55 :: v_dual_fmac_f32 v48, 0x3f4f1bbd, v54
	s_delay_alu instid0(VALU_DEP_1) | instskip(SKIP_1) | instid1(VALU_DEP_3)
	v_dual_fmac_f32 v47, 0x3f167918, v54 :: v_dual_add_f32 v54, v13, v19
	v_sub_f32_e32 v13, v13, v19
	v_add_f32_e32 v19, v58, v48
	v_sub_f32_e32 v48, v58, v48
	s_delay_alu instid0(VALU_DEP_4)
	v_add_f32_e32 v64, v62, v47
	v_sub_f32_e32 v47, v62, v47
	v_fmamk_f32 v62, v110, 0xbf737871, v18
	v_fmac_f32_e32 v18, 0x3f737871, v110
	v_add_f32_e32 v58, v16, v17
	v_sub_f32_e32 v59, v16, v17
	v_sub_f32_e32 v16, v52, v43
	v_sub_f32_e32 v17, v44, v46
	v_dual_fmac_f32 v123, 0xbf167918, v122 :: v_dual_fmac_f32 v62, 0xbf167918, v107
	v_fmac_f32_e32 v18, 0x3f167918, v107
	s_delay_alu instid0(VALU_DEP_3) | instskip(NEXT) | instid1(VALU_DEP_3)
	v_dual_add_f32 v16, v16, v17 :: v_dual_add_f32 v17, v22, v43
	v_fmac_f32_e32 v123, 0x3e9e377a, v49
	v_dual_mul_f32 v49, 0xbf737871, v128 :: v_dual_add_f32 v22, v45, v39
	s_delay_alu instid0(VALU_DEP_3) | instskip(SKIP_1) | instid1(VALU_DEP_4)
	v_dual_fmac_f32 v62, 0x3e9e377a, v16 :: v_dual_add_f32 v17, v17, v46
	v_fmac_f32_e32 v18, 0x3e9e377a, v16
	v_mul_f32_e32 v55, 0xbf4f1bbd, v123
	v_mul_f32_e32 v53, 0xbf167918, v123
	s_delay_alu instid0(VALU_DEP_4) | instskip(SKIP_1) | instid1(VALU_DEP_4)
	v_dual_fmac_f32 v49, 0x3e9e377a, v131 :: v_dual_add_f32 v16, v17, v44
	v_add_f32_e32 v17, v8, v51
	v_dual_sub_f32 v44, v52, v44 :: v_dual_fmac_f32 v55, 0x3f167918, v119
	v_sub_f32_e32 v43, v43, v46
	s_delay_alu instid0(VALU_DEP_3)
	v_dual_add_f32 v46, v51, v12 :: v_dual_add_f32 v17, v17, v45
	v_dual_fmac_f32 v53, 0xbf4f1bbd, v119 :: v_dual_sub_f32 v52, v51, v45
	v_add_f32_e32 v56, v130, v49
	v_sub_f32_e32 v49, v130, v49
	v_add_f32_e32 v111, v114, v55
	v_sub_f32_e32 v113, v114, v55
	v_sub_f32_e32 v55, v12, v39
	v_fma_f32 v22, -0.5, v22, v8
	v_dual_add_f32 v17, v17, v39 :: v_dual_fmac_f32 v8, -0.5, v46
	v_sub_f32_e32 v45, v45, v51
	s_delay_alu instid0(VALU_DEP_4) | instskip(NEXT) | instid1(VALU_DEP_4)
	v_add_f32_e32 v52, v52, v55
	v_fmamk_f32 v55, v44, 0x3f737871, v22
	v_dual_fmac_f32 v22, 0xbf737871, v44 :: v_dual_add_f32 v57, v115, v53
	v_sub_f32_e32 v53, v115, v53
	v_add_f32_e32 v17, v17, v12
	v_sub_f32_e32 v12, v39, v12
	v_fmamk_f32 v39, v43, 0xbf737871, v8
	v_fmac_f32_e32 v8, 0x3f737871, v43
	v_fmac_f32_e32 v55, 0x3f167918, v43
	;; [unrolled: 1-line block ×3, first 2 shown]
	v_add_f32_e32 v12, v45, v12
	s_delay_alu instid0(VALU_DEP_4) | instskip(NEXT) | instid1(VALU_DEP_3)
	v_fmac_f32_e32 v8, 0xbf167918, v44
	v_fmac_f32_e32 v22, 0x3e9e377a, v52
	s_delay_alu instid0(VALU_DEP_2) | instskip(SKIP_1) | instid1(VALU_DEP_2)
	v_fmac_f32_e32 v8, 0x3e9e377a, v12
	v_fmac_f32_e32 v85, 0xbf167918, v106
	v_dual_fmac_f32 v39, 0x3f167918, v44 :: v_dual_add_f32 v46, v8, v9
	s_delay_alu instid0(VALU_DEP_2) | instskip(SKIP_1) | instid1(VALU_DEP_1)
	v_dual_sub_f32 v8, v8, v9 :: v_dual_fmac_f32 v85, 0x3e9e377a, v88
	v_dual_add_f32 v43, v87, v40 :: v_dual_sub_f32 v40, v32, v38
	v_dual_fmac_f32 v39, 0x3e9e377a, v12 :: v_dual_add_f32 v38, v43, v38
	s_delay_alu instid0(VALU_DEP_2) | instskip(SKIP_2) | instid1(VALU_DEP_4)
	v_add_f32_e32 v35, v35, v40
	v_dual_sub_f32 v40, v11, v31 :: v_dual_fmamk_f32 v43, v104, 0x3f737871, v23
	v_fmac_f32_e32 v23, 0xbf737871, v104
	v_add_f32_e32 v12, v38, v32
	s_delay_alu instid0(VALU_DEP_3) | instskip(NEXT) | instid1(VALU_DEP_4)
	v_dual_fmamk_f32 v45, v106, 0xbf737871, v21 :: v_dual_add_f32 v32, v37, v40
	v_fmac_f32_e32 v43, 0x3f167918, v86
	s_delay_alu instid0(VALU_DEP_3) | instskip(SKIP_2) | instid1(VALU_DEP_4)
	v_dual_fmac_f32 v23, 0xbf167918, v86 :: v_dual_add_f32 v38, v16, v12
	v_sub_f32_e32 v12, v16, v12
	v_add_f32_e32 v31, v36, v31
	v_fmac_f32_e32 v43, 0x3e9e377a, v32
	s_delay_alu instid0(VALU_DEP_4) | instskip(NEXT) | instid1(VALU_DEP_3)
	v_fmac_f32_e32 v23, 0x3e9e377a, v32
	v_dual_mul_f32 v32, 0x3e9e377a, v84 :: v_dual_add_f32 v11, v31, v11
	s_delay_alu instid0(VALU_DEP_3) | instskip(NEXT) | instid1(VALU_DEP_3)
	v_mul_f32_e32 v36, 0x3f4f1bbd, v43
	v_mul_f32_e32 v37, 0xbf167918, v23
	s_delay_alu instid0(VALU_DEP_3) | instskip(SKIP_3) | instid1(VALU_DEP_3)
	v_fmac_f32_e32 v32, 0x3f737871, v85
	v_fmac_f32_e32 v45, 0xbf167918, v105
	v_mul_f32_e32 v23, 0xbf4f1bbd, v23
	v_mul_f32_e32 v31, 0xbf737871, v84
	v_fmac_f32_e32 v45, 0x3e9e377a, v35
	s_delay_alu instid0(VALU_DEP_2) | instskip(NEXT) | instid1(VALU_DEP_2)
	v_fmac_f32_e32 v31, 0x3e9e377a, v85
	v_fmac_f32_e32 v36, 0x3f167918, v45
	;; [unrolled: 1-line block ×3, first 2 shown]
	s_delay_alu instid0(VALU_DEP_1) | instskip(NEXT) | instid1(VALU_DEP_1)
	v_fmac_f32_e32 v21, 0x3f167918, v105
	v_fmac_f32_e32 v21, 0x3e9e377a, v35
	v_mul_f32_e32 v35, 0xbf167918, v43
	v_add_f32_e32 v43, v17, v11
	s_delay_alu instid0(VALU_DEP_3) | instskip(NEXT) | instid1(VALU_DEP_3)
	v_fmac_f32_e32 v37, 0xbf4f1bbd, v21
	v_fmac_f32_e32 v35, 0x3f4f1bbd, v45
	v_sub_f32_e32 v45, v17, v11
	v_and_b32_e32 v11, 0xffff, v29
	v_fmac_f32_e32 v55, 0x3e9e377a, v52
	v_fmac_f32_e32 v23, 0x3f167918, v21
	v_dual_add_f32 v16, v18, v37 :: v_dual_and_b32 v17, 0xffff, v28
	s_delay_alu instid0(VALU_DEP_4)
	v_mul_u32_u24_e32 v9, 0x78, v11
	v_dual_sub_f32 v18, v18, v37 :: v_dual_lshlrev_b32 v11, 2, v30
	v_add_f32_e32 v44, v55, v36
	v_dual_sub_f32 v29, v55, v36 :: v_dual_add_f32 v36, v22, v23
	v_sub_f32_e32 v28, v22, v23
	v_mul_lo_u16 v22, 0x89, v25
	v_add3_u32 v9, 0, v9, v11
	v_mul_u32_u24_e32 v11, 0x78, v17
	v_lshlrev_b32_e32 v17, 2, v41
	ds_store_2addr_b32 v9, v14, v61 offset1:3
	ds_store_2addr_b32 v9, v71, v74 offset0:6 offset1:9
	v_lshrrev_b16 v22, 12, v22
	v_add3_u32 v30, 0, v11, v17
	v_mul_u32_u24_e32 v11, 0x78, v26
	v_lshlrev_b32_e32 v14, 2, v42
	v_mul_lo_u16 v25, 0x89, v27
	v_mul_lo_u16 v23, v22, 30
	v_add_f32_e32 v7, v62, v35
	v_add_f32_e32 v21, v82, v31
	v_add3_u32 v26, 0, v11, v14
	v_sub_f32_e32 v35, v62, v35
	v_sub_f32_e32 v31, v82, v31
	v_add_f32_e32 v37, v39, v32
	v_sub_f32_e32 v32, v39, v32
	ds_store_2addr_b32 v9, v69, v4 offset0:12 offset1:15
	ds_store_2addr_b32 v9, v66, v68 offset0:18 offset1:21
	;; [unrolled: 1-line block ×3, first 2 shown]
	ds_store_2addr_b32 v30, v54, v19 offset1:3
	ds_store_2addr_b32 v30, v56, v134 offset0:6 offset1:9
	ds_store_2addr_b32 v30, v57, v13 offset0:12 offset1:15
	;; [unrolled: 1-line block ×4, first 2 shown]
	ds_store_2addr_b32 v26, v38, v7 offset1:3
	ds_store_2addr_b32 v26, v21, v10 offset0:6 offset1:9
	ds_store_2addr_b32 v26, v16, v12 offset0:12 offset1:15
	;; [unrolled: 1-line block ×4, first 2 shown]
	global_wb scope:SCOPE_SE
	s_wait_dscnt 0x0
	s_barrier_signal -1
	s_barrier_wait -1
	global_inv scope:SCOPE_SE
	ds_load_2addr_b32 v[6:7], v0 offset1:90
	ds_load_2addr_b32 v[4:5], v91 offset0:52 offset1:142
	ds_load_2addr_b32 v[39:40], v94 offset0:28 offset1:118
	ds_load_2addr_b32 v[53:54], v95 offset0:80 offset1:170
	ds_load_2addr_b32 v[55:56], v92 offset0:56 offset1:146
	ds_load_2addr_b32 v[62:63], v96 offset0:108 offset1:198
	ds_load_2addr_b32 v[107:108], v98 offset0:84 offset1:174
	ds_load_2addr_b32 v[18:19], v89 offset0:8 offset1:98
	ds_load_2addr_b32 v[14:15], v97 offset0:112 offset1:202
	ds_load_2addr_b32 v[10:11], v99 offset0:36 offset1:126
	ds_load_2addr_b32 v[66:67], v100 offset0:104 offset1:194
	ds_load_2addr_b32 v[109:110], v90 offset0:132 offset1:222
	ds_load_2addr_b32 v[20:21], v101 offset0:160 offset1:250
	ds_load_2addr_b32 v[12:13], v93 offset0:60 offset1:150
	ds_load_2addr_b32 v[16:17], v102 offset0:88 offset1:178
	global_wb scope:SCOPE_SE
	s_wait_dscnt 0x0
	s_barrier_signal -1
	s_barrier_wait -1
	global_inv scope:SCOPE_SE
	ds_store_2addr_b32 v9, v70, v77 offset1:3
	ds_store_2addr_b32 v9, v79, v78 offset0:6 offset1:9
	ds_store_2addr_b32 v9, v112, v76 offset0:12 offset1:15
	;; [unrolled: 1-line block ×4, first 2 shown]
	ds_store_2addr_b32 v30, v58, v64 offset1:3
	ds_store_2addr_b32 v30, v72, v80 offset0:6 offset1:9
	v_sub_nc_u16 v9, v3, v23
	v_lshrrev_b16 v23, 12, v25
	ds_store_2addr_b32 v30, v111, v59 offset0:12 offset1:15
	ds_store_2addr_b32 v30, v47, v50 offset0:18 offset1:21
	;; [unrolled: 1-line block ×3, first 2 shown]
	ds_store_2addr_b32 v26, v43, v44 offset1:3
	ds_store_2addr_b32 v26, v37, v46 offset0:6 offset1:9
	ds_store_2addr_b32 v26, v36, v45 offset0:12 offset1:15
	v_and_b32_e32 v27, 0xff, v9
	v_mul_lo_u16 v9, v23, 30
	ds_store_2addr_b32 v26, v29, v32 offset0:18 offset1:21
	v_mul_lo_u16 v29, v24, 30
	ds_store_2addr_b32 v26, v8, v28 offset0:24 offset1:27
	v_mul_u32_u24_e32 v25, 9, v27
	v_sub_nc_u16 v9, v33, v9
	global_wb scope:SCOPE_SE
	s_wait_dscnt 0x0
	s_barrier_signal -1
	s_barrier_wait -1
	v_lshlrev_b32_e32 v8, 3, v25
	v_and_b32_e32 v26, 0xff, v9
	v_sub_nc_u16 v9, v34, v29
	global_inv scope:SCOPE_SE
	global_load_b128 v[28:31], v8, s[4:5] offset:216
	v_mul_u32_u24_e32 v32, 9, v26
	v_and_b32_e32 v25, 0xffff, v9
	s_delay_alu instid0(VALU_DEP_2) | instskip(NEXT) | instid1(VALU_DEP_2)
	v_lshlrev_b32_e32 v9, 3, v32
	v_mul_u32_u24_e32 v32, 9, v25
	global_load_b128 v[35:38], v9, s[4:5] offset:216
	v_lshlrev_b32_e32 v32, 3, v32
	s_clause 0xc
	global_load_b128 v[41:44], v32, s[4:5] offset:216
	global_load_b128 v[45:48], v8, s[4:5] offset:232
	;; [unrolled: 1-line block ×10, first 2 shown]
	global_load_b64 v[111:112], v8, s[4:5] offset:280
	global_load_b64 v[113:114], v9, s[4:5] offset:280
	;; [unrolled: 1-line block ×3, first 2 shown]
	ds_load_2addr_b32 v[8:9], v91 offset0:52 offset1:142
	ds_load_2addr_b32 v[117:118], v94 offset0:28 offset1:118
	;; [unrolled: 1-line block ×4, first 2 shown]
	s_wait_loadcnt_dscnt 0xe03
	v_mul_f32_e32 v88, v9, v29
	v_mul_f32_e32 v29, v5, v29
	s_wait_dscnt 0x2
	v_mul_f32_e32 v123, v117, v31
	s_delay_alu instid0(VALU_DEP_3) | instskip(NEXT) | instid1(VALU_DEP_3)
	v_dual_mul_f32 v31, v39, v31 :: v_dual_fmac_f32 v88, v5, v28
	v_fma_f32 v124, v9, v28, -v29
	s_delay_alu instid0(VALU_DEP_3) | instskip(NEXT) | instid1(VALU_DEP_3)
	v_fmac_f32_e32 v123, v39, v30
	v_fma_f32 v117, v117, v30, -v31
	ds_load_2addr_b32 v[29:30], v92 offset0:56 offset1:146
	s_wait_loadcnt_dscnt 0xc02
	v_mul_f32_e32 v5, v120, v42
	v_mul_f32_e32 v65, v118, v38
	v_dual_mul_f32 v9, v40, v38 :: v_dual_mul_f32 v28, v66, v36
	v_mul_f32_e32 v39, v119, v36
	s_delay_alu instid0(VALU_DEP_4) | instskip(NEXT) | instid1(VALU_DEP_4)
	v_fmac_f32_e32 v5, v67, v41
	v_fmac_f32_e32 v65, v40, v37
	s_delay_alu instid0(VALU_DEP_4)
	v_fma_f32 v64, v118, v37, -v9
	v_mul_f32_e32 v9, v67, v42
	ds_load_2addr_b32 v[37:38], v90 offset0:132 offset1:222
	v_fma_f32 v40, v119, v35, -v28
	v_fmac_f32_e32 v39, v66, v35
	s_wait_dscnt 0x2
	v_mul_f32_e32 v35, v121, v44
	v_fma_f32 v28, v120, v41, -v9
	ds_load_2addr_b32 v[41:42], v96 offset0:108 offset1:198
	s_wait_loadcnt 0xb
	v_dual_mul_f32 v9, v53, v44 :: v_dual_mul_f32 v118, v122, v46
	v_mul_f32_e32 v31, v54, v46
	s_wait_loadcnt_dscnt 0xa02
	v_mul_f32_e32 v67, v30, v52
	s_delay_alu instid0(VALU_DEP_3)
	v_fma_f32 v32, v121, v43, -v9
	v_dual_fmac_f32 v118, v54, v45 :: v_dual_fmac_f32 v35, v53, v43
	v_fma_f32 v53, v122, v45, -v31
	v_mul_f32_e32 v9, v55, v48
	ds_load_2addr_b32 v[45:46], v101 offset0:160 offset1:250
	v_mul_f32_e32 v54, v29, v48
	v_mul_f32_e32 v31, v56, v52
	ds_load_2addr_b32 v[43:44], v98 offset0:84 offset1:174
	v_fma_f32 v52, v29, v47, -v9
	s_wait_dscnt 0x3
	v_mul_f32_e32 v57, v37, v50
	v_dual_mul_f32 v9, v109, v50 :: v_dual_fmac_f32 v54, v55, v47
	v_fmac_f32_e32 v67, v56, v51
	ds_load_2addr_b32 v[47:48], v89 offset0:8 offset1:98
	v_fmac_f32_e32 v57, v109, v49
	v_fma_f32 v56, v37, v49, -v9
	s_wait_loadcnt_dscnt 0x803
	v_mul_f32_e32 v49, v42, v69
	v_fma_f32 v66, v30, v51, -v31
	v_dual_mul_f32 v31, v63, v69 :: v_dual_mul_f32 v30, v38, v59
	v_mul_f32_e32 v29, v110, v59
	s_delay_alu instid0(VALU_DEP_4)
	v_fmac_f32_e32 v49, v63, v68
	v_mul_f32_e32 v9, v62, v61
	v_mul_f32_e32 v36, v41, v61
	v_fma_f32 v51, v42, v68, -v31
	s_wait_loadcnt 0x7
	v_mul_f32_e32 v31, v108, v75
	s_wait_dscnt 0x2
	v_mul_f32_e32 v59, v45, v73
	v_fma_f32 v37, v41, v60, -v9
	v_dual_mul_f32 v9, v107, v71 :: v_dual_fmac_f32 v36, v62, v60
	s_wait_dscnt 0x1
	v_mul_f32_e32 v50, v43, v71
	v_mul_f32_e32 v69, v44, v75
	ds_load_2addr_b32 v[41:42], v97 offset0:112 offset1:202
	v_fma_f32 v55, v43, v70, -v9
	v_mul_f32_e32 v9, v20, v73
	v_fma_f32 v68, v44, v74, -v31
	s_wait_loadcnt 0x6
	v_dual_fmac_f32 v59, v20, v72 :: v_dual_mul_f32 v20, v21, v77
	ds_load_2addr_b32 v[43:44], v93 offset0:60 offset1:150
	s_wait_loadcnt 0x5
	v_mul_f32_e32 v60, v19, v81
	v_fmac_f32_e32 v30, v110, v58
	v_fma_f32 v29, v38, v58, -v29
	v_fma_f32 v58, v45, v72, -v9
	;; [unrolled: 1-line block ×3, first 2 shown]
	s_wait_dscnt 0x2
	v_fma_f32 v72, v48, v80, -v60
	v_mul_f32_e32 v31, v46, v77
	ds_load_2addr_b32 v[45:46], v99 offset0:36 offset1:126
	v_mul_f32_e32 v38, v47, v79
	v_mul_f32_e32 v9, v18, v79
	;; [unrolled: 1-line block ×3, first 2 shown]
	v_fmac_f32_e32 v31, v21, v76
	s_delay_alu instid0(VALU_DEP_4) | instskip(NEXT) | instid1(VALU_DEP_4)
	v_dual_mul_f32 v21, v48, v81 :: v_dual_fmac_f32 v38, v18, v78
	v_fma_f32 v18, v47, v78, -v9
	s_wait_loadcnt 0x4
	v_mul_f32_e32 v9, v15, v87
	ds_load_2addr_b32 v[47:48], v102 offset0:88 offset1:178
	s_wait_dscnt 0x3
	v_dual_fmac_f32 v50, v107, v70 :: v_dual_mul_f32 v71, v41, v83
	v_fmac_f32_e32 v21, v19, v80
	v_fma_f32 v41, v41, v82, -v61
	s_wait_dscnt 0x2
	v_mul_f32_e32 v61, v43, v85
	v_mul_f32_e32 v19, v12, v85
	v_fma_f32 v70, v42, v86, -v9
	s_wait_loadcnt 0x3
	v_mul_f32_e32 v9, v13, v104
	v_dual_fmac_f32 v71, v14, v82 :: v_dual_mul_f32 v14, v44, v104
	v_fmac_f32_e32 v61, v12, v84
	v_fma_f32 v60, v43, v84, -v19
	s_wait_dscnt 0x1
	v_mul_f32_e32 v19, v45, v106
	v_fma_f32 v12, v44, v103, -v9
	s_wait_loadcnt 0x2
	v_dual_mul_f32 v9, v11, v112 :: v_dual_fmac_f32 v14, v13, v103
	v_mul_f32_e32 v13, v10, v106
	v_fmac_f32_e32 v19, v10, v105
	v_add_f32_e32 v10, v54, v50
	s_delay_alu instid0(VALU_DEP_4)
	v_fma_f32 v43, v46, v111, -v9
	s_wait_loadcnt 0x1
	v_mul_f32_e32 v9, v16, v114
	v_mul_f32_e32 v73, v42, v87
	;; [unrolled: 1-line block ×3, first 2 shown]
	v_fma_f32 v44, -0.5, v10, v6
	s_wait_dscnt 0x0
	v_mul_f32_e32 v63, v47, v114
	v_fma_f32 v62, v47, v113, -v9
	ds_load_2addr_b32 v[9:10], v0 offset1:90
	v_fmac_f32_e32 v73, v15, v86
	v_fma_f32 v15, v45, v105, -v13
	s_wait_loadcnt 0x0
	v_dual_fmac_f32 v42, v11, v111 :: v_dual_mul_f32 v11, v48, v116
	v_sub_f32_e32 v45, v117, v41
	v_fmac_f32_e32 v69, v108, v74
	v_fmac_f32_e32 v63, v16, v113
	v_mul_f32_e32 v13, v17, v116
	v_fmac_f32_e32 v11, v17, v115
	v_dual_fmamk_f32 v17, v45, 0xbf737871, v44 :: v_dual_add_f32 v16, v123, v71
	v_dual_sub_f32 v46, v52, v55 :: v_dual_sub_f32 v47, v123, v54
	v_sub_f32_e32 v74, v71, v50
	v_fmac_f32_e32 v44, 0x3f737871, v45
	s_delay_alu instid0(VALU_DEP_4) | instskip(NEXT) | instid1(VALU_DEP_4)
	v_fma_f32 v75, -0.5, v16, v6
	v_fmac_f32_e32 v17, 0xbf167918, v46
	v_fma_f32 v13, v48, v115, -v13
	v_add_f32_e32 v16, v47, v74
	v_fmac_f32_e32 v44, 0x3f167918, v46
	v_sub_f32_e32 v48, v50, v71
	v_fmamk_f32 v74, v46, 0x3f737871, v75
	v_fmac_f32_e32 v75, 0xbf737871, v46
	v_fmac_f32_e32 v17, 0x3e9e377a, v16
	;; [unrolled: 1-line block ×3, first 2 shown]
	s_wait_dscnt 0x0
	v_add_f32_e32 v16, v9, v117
	v_fmac_f32_e32 v74, 0xbf167918, v45
	v_fmac_f32_e32 v75, 0x3f167918, v45
	v_add_f32_e32 v45, v52, v55
	global_wb scope:SCOPE_SE
	v_add_f32_e32 v16, v16, v52
	v_add_f32_e32 v6, v6, v123
	v_sub_f32_e32 v47, v54, v123
	s_barrier_signal -1
	s_barrier_wait -1
	v_add_f32_e32 v16, v16, v55
	v_add_f32_e32 v6, v6, v54
	;; [unrolled: 1-line block ×3, first 2 shown]
	v_sub_f32_e32 v47, v117, v52
	v_sub_f32_e32 v48, v41, v55
	v_add_f32_e32 v76, v16, v41
	v_add_f32_e32 v6, v6, v50
	v_fmac_f32_e32 v74, 0x3e9e377a, v46
	v_dual_fmac_f32 v75, 0x3e9e377a, v46 :: v_dual_sub_f32 v46, v123, v71
	s_delay_alu instid0(VALU_DEP_3) | instskip(SKIP_3) | instid1(VALU_DEP_3)
	v_dual_add_f32 v47, v47, v48 :: v_dual_add_f32 v6, v6, v71
	v_fma_f32 v71, -0.5, v45, v9
	v_dual_sub_f32 v45, v54, v50 :: v_dual_add_f32 v50, v117, v41
	v_sub_f32_e32 v16, v55, v41
	v_dual_add_f32 v41, v49, v21 :: v_dual_fmamk_f32 v54, v46, 0x3f737871, v71
	v_fmac_f32_e32 v71, 0xbf737871, v46
	s_delay_alu instid0(VALU_DEP_4) | instskip(SKIP_1) | instid1(VALU_DEP_4)
	v_fma_f32 v77, -0.5, v50, v9
	v_sub_f32_e32 v9, v52, v117
	v_fma_f32 v41, -0.5, v41, v88
	v_fmac_f32_e32 v54, 0x3f167918, v45
	v_fmac_f32_e32 v71, 0xbf167918, v45
	v_fmamk_f32 v55, v45, 0xbf737871, v77
	v_dual_fmac_f32 v77, 0x3f737871, v45 :: v_dual_sub_f32 v50, v51, v72
	s_delay_alu instid0(VALU_DEP_4) | instskip(NEXT) | instid1(VALU_DEP_4)
	v_fmac_f32_e32 v54, 0x3e9e377a, v47
	v_fmac_f32_e32 v71, 0x3e9e377a, v47
	v_sub_f32_e32 v47, v53, v43
	v_fmac_f32_e32 v55, 0x3f167918, v46
	v_dual_add_f32 v9, v9, v16 :: v_dual_sub_f32 v16, v118, v49
	s_delay_alu instid0(VALU_DEP_3) | instskip(SKIP_1) | instid1(VALU_DEP_3)
	v_dual_sub_f32 v45, v42, v21 :: v_dual_fmamk_f32 v48, v47, 0xbf737871, v41
	v_dual_fmac_f32 v41, 0x3f737871, v47 :: v_dual_sub_f32 v52, v21, v42
	v_fmac_f32_e32 v55, 0x3e9e377a, v9
	s_delay_alu instid0(VALU_DEP_3) | instskip(NEXT) | instid1(VALU_DEP_4)
	v_add_f32_e32 v16, v16, v45
	v_fmac_f32_e32 v48, 0xbf167918, v50
	v_fmac_f32_e32 v77, 0xbf167918, v46
	v_add_f32_e32 v46, v118, v42
	v_add_f32_e32 v45, v88, v118
	v_fmac_f32_e32 v41, 0x3f167918, v50
	s_delay_alu instid0(VALU_DEP_4) | instskip(NEXT) | instid1(VALU_DEP_4)
	v_dual_fmac_f32 v48, 0x3e9e377a, v16 :: v_dual_fmac_f32 v77, 0x3e9e377a, v9
	v_fmac_f32_e32 v88, -0.5, v46
	global_inv scope:SCOPE_SE
	v_dual_fmac_f32 v41, 0x3e9e377a, v16 :: v_dual_sub_f32 v16, v118, v42
	v_fmamk_f32 v78, v50, 0x3f737871, v88
	v_fmac_f32_e32 v88, 0xbf737871, v50
	v_add_f32_e32 v50, v124, v53
	s_delay_alu instid0(VALU_DEP_3) | instskip(SKIP_1) | instid1(VALU_DEP_4)
	v_dual_fmac_f32 v78, 0xbf167918, v47 :: v_dual_add_f32 v45, v45, v49
	v_sub_f32_e32 v46, v49, v118
	v_fmac_f32_e32 v88, 0x3f167918, v47
	v_add_f32_e32 v47, v53, v43
	s_delay_alu instid0(VALU_DEP_3) | instskip(SKIP_1) | instid1(VALU_DEP_2)
	v_dual_add_f32 v9, v45, v21 :: v_dual_add_f32 v46, v46, v52
	v_sub_f32_e32 v45, v53, v51
	v_dual_add_f32 v9, v9, v42 :: v_dual_add_f32 v42, v51, v72
	s_delay_alu instid0(VALU_DEP_3) | instskip(SKIP_2) | instid1(VALU_DEP_4)
	v_fmac_f32_e32 v78, 0x3e9e377a, v46
	v_fmac_f32_e32 v88, 0x3e9e377a, v46
	v_sub_f32_e32 v46, v43, v72
	v_fma_f32 v42, -0.5, v42, v124
	s_delay_alu instid0(VALU_DEP_2) | instskip(NEXT) | instid1(VALU_DEP_2)
	v_dual_fmac_f32 v124, -0.5, v47 :: v_dual_add_f32 v45, v45, v46
	v_dual_add_f32 v46, v50, v51 :: v_dual_fmamk_f32 v47, v16, 0x3f737871, v42
	v_dual_sub_f32 v50, v72, v43 :: v_dual_sub_f32 v21, v49, v21
	v_dual_sub_f32 v49, v51, v53 :: v_dual_fmac_f32 v42, 0xbf737871, v16
	s_delay_alu instid0(VALU_DEP_2) | instskip(NEXT) | instid1(VALU_DEP_4)
	v_dual_add_f32 v46, v46, v72 :: v_dual_fmamk_f32 v51, v21, 0xbf737871, v124
	v_fmac_f32_e32 v47, 0x3f167918, v21
	s_delay_alu instid0(VALU_DEP_3) | instskip(NEXT) | instid1(VALU_DEP_4)
	v_dual_fmac_f32 v124, 0x3f737871, v21 :: v_dual_add_f32 v49, v49, v50
	v_fmac_f32_e32 v42, 0xbf167918, v21
	s_delay_alu instid0(VALU_DEP_4) | instskip(NEXT) | instid1(VALU_DEP_4)
	v_fmac_f32_e32 v51, 0x3f167918, v16
	v_fmac_f32_e32 v47, 0x3e9e377a, v45
	s_delay_alu instid0(VALU_DEP_4) | instskip(NEXT) | instid1(VALU_DEP_4)
	v_dual_fmac_f32 v124, 0xbf167918, v16 :: v_dual_add_f32 v43, v46, v43
	v_fmac_f32_e32 v42, 0x3e9e377a, v45
	s_delay_alu instid0(VALU_DEP_4) | instskip(NEXT) | instid1(VALU_DEP_4)
	v_fmac_f32_e32 v51, 0x3e9e377a, v49
	v_mul_f32_e32 v21, 0xbf167918, v47
	v_mul_f32_e32 v47, 0x3f4f1bbd, v47
	v_fmac_f32_e32 v124, 0x3e9e377a, v49
	v_mul_f32_e32 v49, 0xbf167918, v42
	v_mul_f32_e32 v45, 0xbf737871, v51
	;; [unrolled: 1-line block ×3, first 2 shown]
	v_dual_fmac_f32 v47, 0x3f167918, v48 :: v_dual_add_f32 v16, v6, v9
	v_mul_f32_e32 v79, 0xbe9e377a, v124
	s_delay_alu instid0(VALU_DEP_4) | instskip(NEXT) | instid1(VALU_DEP_4)
	v_fmac_f32_e32 v45, 0x3e9e377a, v78
	v_fmac_f32_e32 v72, 0x3f737871, v78
	v_dual_mul_f32 v78, 0xbf4f1bbd, v42 :: v_dual_fmac_f32 v49, 0xbf4f1bbd, v41
	v_dual_sub_f32 v51, v6, v9 :: v_dual_add_f32 v6, v76, v43
	v_add_f32_e32 v9, v54, v47
	v_sub_f32_e32 v42, v76, v43
	v_sub_f32_e32 v43, v54, v47
	v_add_f32_e32 v47, v67, v69
	v_fmac_f32_e32 v21, 0x3f4f1bbd, v48
	v_fmac_f32_e32 v79, 0x3f737871, v88
	;; [unrolled: 1-line block ×3, first 2 shown]
	v_add_f32_e32 v53, v44, v49
	v_sub_f32_e32 v49, v44, v49
	v_add_f32_e32 v41, v55, v72
	v_sub_f32_e32 v44, v55, v72
	v_fma_f32 v72, -0.5, v47, v7
	v_dual_sub_f32 v55, v64, v70 :: v_dual_add_f32 v48, v17, v21
	v_add_f32_e32 v50, v74, v45
	v_sub_f32_e32 v17, v17, v21
	v_dual_sub_f32 v21, v74, v45 :: v_dual_sub_f32 v54, v65, v67
	v_sub_f32_e32 v74, v73, v69
	v_add_f32_e32 v45, v77, v79
	v_dual_sub_f32 v47, v77, v79 :: v_dual_fmamk_f32 v76, v55, 0xbf737871, v72
	v_dual_sub_f32 v77, v66, v68 :: v_dual_fmac_f32 v72, 0x3f737871, v55
	s_delay_alu instid0(VALU_DEP_4) | instskip(SKIP_2) | instid1(VALU_DEP_4)
	v_add_f32_e32 v74, v54, v74
	v_mul_f32_e32 v46, 0xbf737871, v124
	v_add_f32_e32 v54, v7, v65
	v_fmac_f32_e32 v76, 0xbf167918, v77
	v_fmac_f32_e32 v72, 0x3f167918, v77
	s_delay_alu instid0(VALU_DEP_4) | instskip(NEXT) | instid1(VALU_DEP_3)
	v_dual_sub_f32 v79, v69, v73 :: v_dual_fmac_f32 v46, 0xbe9e377a, v88
	v_fmac_f32_e32 v76, 0x3e9e377a, v74
	s_delay_alu instid0(VALU_DEP_3) | instskip(SKIP_1) | instid1(VALU_DEP_1)
	v_fmac_f32_e32 v72, 0x3e9e377a, v74
	v_add_f32_e32 v74, v10, v64
	v_add_f32_e32 v74, v74, v66
	s_delay_alu instid0(VALU_DEP_1) | instskip(SKIP_2) | instid1(VALU_DEP_1)
	v_add_f32_e32 v74, v74, v68
	v_add_f32_e32 v52, v75, v46
	v_dual_sub_f32 v46, v75, v46 :: v_dual_add_f32 v75, v65, v73
	v_fmac_f32_e32 v7, -0.5, v75
	v_sub_f32_e32 v75, v67, v65
	v_sub_f32_e32 v65, v65, v73
	s_delay_alu instid0(VALU_DEP_3) | instskip(SKIP_1) | instid1(VALU_DEP_4)
	v_fmamk_f32 v80, v77, 0x3f737871, v7
	v_fmac_f32_e32 v7, 0xbf737871, v77
	v_add_f32_e32 v75, v75, v79
	v_dual_add_f32 v77, v54, v67 :: v_dual_sub_f32 v54, v71, v78
	s_delay_alu instid0(VALU_DEP_4) | instskip(NEXT) | instid1(VALU_DEP_4)
	v_fmac_f32_e32 v80, 0xbf167918, v55
	v_fmac_f32_e32 v7, 0x3f167918, v55
	v_add_f32_e32 v55, v71, v78
	s_delay_alu instid0(VALU_DEP_4) | instskip(NEXT) | instid1(VALU_DEP_4)
	v_add_f32_e32 v71, v77, v69
	v_dual_sub_f32 v77, v70, v68 :: v_dual_fmac_f32 v80, 0x3e9e377a, v75
	s_delay_alu instid0(VALU_DEP_4) | instskip(SKIP_1) | instid1(VALU_DEP_4)
	v_fmac_f32_e32 v7, 0x3e9e377a, v75
	v_add_f32_e32 v75, v66, v68
	v_add_f32_e32 v71, v71, v73
	v_sub_f32_e32 v73, v64, v66
	v_sub_f32_e32 v67, v67, v69
	v_add_f32_e32 v69, v64, v70
	v_fma_f32 v75, -0.5, v75, v10
	s_delay_alu instid0(VALU_DEP_4) | instskip(SKIP_1) | instid1(VALU_DEP_3)
	v_dual_sub_f32 v64, v66, v64 :: v_dual_add_f32 v73, v73, v77
	v_sub_f32_e32 v68, v68, v70
	v_dual_fmac_f32 v10, -0.5, v69 :: v_dual_fmamk_f32 v77, v65, 0x3f737871, v75
	v_dual_fmac_f32 v75, 0xbf737871, v65 :: v_dual_add_f32 v66, v74, v70
	s_delay_alu instid0(VALU_DEP_2) | instskip(NEXT) | instid1(VALU_DEP_3)
	v_dual_add_f32 v64, v64, v68 :: v_dual_fmamk_f32 v69, v67, 0xbf737871, v10
	v_fmac_f32_e32 v77, 0x3f167918, v67
	s_delay_alu instid0(VALU_DEP_3) | instskip(SKIP_1) | instid1(VALU_DEP_4)
	v_fmac_f32_e32 v75, 0xbf167918, v67
	v_dual_fmac_f32 v10, 0x3f737871, v67 :: v_dual_add_f32 v67, v59, v61
	v_fmac_f32_e32 v69, 0x3f167918, v65
	s_delay_alu instid0(VALU_DEP_4) | instskip(NEXT) | instid1(VALU_DEP_4)
	v_fmac_f32_e32 v77, 0x3e9e377a, v73
	v_dual_fmac_f32 v75, 0x3e9e377a, v73 :: v_dual_sub_f32 v68, v57, v59
	v_sub_f32_e32 v70, v63, v61
	v_dual_fmac_f32 v10, 0xbf167918, v65 :: v_dual_add_f32 v65, v57, v63
	v_fma_f32 v67, -0.5, v67, v39
	v_sub_f32_e32 v73, v56, v62
	s_delay_alu instid0(VALU_DEP_4) | instskip(SKIP_2) | instid1(VALU_DEP_4)
	v_add_f32_e32 v68, v68, v70
	v_add_f32_e32 v70, v39, v57
	v_fmac_f32_e32 v39, -0.5, v65
	v_dual_sub_f32 v65, v58, v60 :: v_dual_fmamk_f32 v74, v73, 0xbf737871, v67
	v_fmac_f32_e32 v67, 0x3f737871, v73
	v_dual_sub_f32 v78, v59, v57 :: v_dual_sub_f32 v79, v61, v63
	s_delay_alu instid0(VALU_DEP_3)
	v_fmamk_f32 v81, v65, 0x3f737871, v39
	v_fmac_f32_e32 v39, 0xbf737871, v65
	v_fmac_f32_e32 v74, 0xbf167918, v65
	v_fmac_f32_e32 v67, 0x3f167918, v65
	v_add_f32_e32 v65, v78, v79
	v_fmac_f32_e32 v81, 0xbf167918, v73
	v_fmac_f32_e32 v39, 0x3f167918, v73
	;; [unrolled: 1-line block ×6, first 2 shown]
	v_add_f32_e32 v64, v58, v60
	v_dual_add_f32 v68, v56, v62 :: v_dual_fmac_f32 v81, 0x3e9e377a, v65
	v_fmac_f32_e32 v39, 0x3e9e377a, v65
	v_sub_f32_e32 v65, v59, v61
	s_delay_alu instid0(VALU_DEP_4)
	v_fma_f32 v64, -0.5, v64, v40
	v_add_f32_e32 v73, v40, v56
	v_dual_fmac_f32 v40, -0.5, v68 :: v_dual_sub_f32 v57, v57, v63
	v_add_f32_e32 v59, v70, v59
	v_sub_f32_e32 v68, v58, v56
	v_sub_f32_e32 v70, v60, v62
	s_delay_alu instid0(VALU_DEP_4)
	v_fmamk_f32 v78, v65, 0xbf737871, v40
	v_fmac_f32_e32 v40, 0x3f737871, v65
	v_dual_sub_f32 v56, v56, v58 :: v_dual_sub_f32 v79, v62, v60
	v_fmamk_f32 v82, v57, 0x3f737871, v64
	v_fmac_f32_e32 v64, 0xbf737871, v57
	v_add_f32_e32 v68, v68, v70
	v_fmac_f32_e32 v40, 0xbf167918, v57
	v_add_f32_e32 v56, v56, v79
	v_fmac_f32_e32 v82, 0x3f167918, v65
	v_add_f32_e32 v58, v73, v58
	v_fmac_f32_e32 v64, 0xbf167918, v65
	v_fmac_f32_e32 v78, 0x3f167918, v57
	;; [unrolled: 1-line block ×4, first 2 shown]
	v_add_f32_e32 v58, v58, v60
	v_fmac_f32_e32 v64, 0x3e9e377a, v56
	v_fmac_f32_e32 v78, 0x3e9e377a, v68
	v_mul_f32_e32 v60, 0xbf737871, v40
	v_mul_f32_e32 v57, 0xbf167918, v82
	v_add_f32_e32 v58, v58, v62
	v_mul_f32_e32 v62, 0xbf167918, v64
	v_mul_f32_e32 v65, 0x3e9e377a, v78
	;; [unrolled: 1-line block ×3, first 2 shown]
	v_fmac_f32_e32 v60, 0xbe9e377a, v39
	v_fmac_f32_e32 v57, 0x3f4f1bbd, v74
	v_mul_f32_e32 v56, 0x3f4f1bbd, v82
	v_mul_f32_e32 v40, 0xbe9e377a, v40
	v_fmac_f32_e32 v65, 0x3f737871, v81
	v_dual_fmac_f32 v64, 0x3f167918, v67 :: v_dual_add_f32 v59, v59, v61
	v_add_f32_e32 v61, v7, v60
	v_dual_sub_f32 v7, v7, v60 :: v_dual_mul_f32 v60, 0xbf737871, v78
	v_fmac_f32_e32 v56, 0x3f167918, v74
	v_fmac_f32_e32 v62, 0xbf4f1bbd, v67
	v_add_f32_e32 v68, v76, v57
	v_fmac_f32_e32 v40, 0x3f737871, v39
	v_dual_add_f32 v70, v66, v58 :: v_dual_sub_f32 v57, v76, v57
	v_dual_add_f32 v73, v69, v65 :: v_dual_sub_f32 v58, v66, v58
	v_add_f32_e32 v66, v36, v38
	v_dual_add_f32 v74, v75, v64 :: v_dual_sub_f32 v65, v69, v65
	v_sub_f32_e32 v64, v75, v64
	v_sub_f32_e32 v69, v35, v36
	;; [unrolled: 1-line block ×3, first 2 shown]
	v_add_f32_e32 v76, v35, v19
	v_dual_fmac_f32 v60, 0x3e9e377a, v81 :: v_dual_add_f32 v67, v72, v62
	v_sub_f32_e32 v62, v72, v62
	v_add_f32_e32 v72, v10, v40
	v_sub_f32_e32 v10, v10, v40
	v_fma_f32 v40, -0.5, v66, v4
	v_sub_f32_e32 v78, v37, v18
	v_add_f32_e32 v69, v69, v75
	v_dual_add_f32 v75, v4, v35 :: v_dual_fmac_f32 v4, -0.5, v76
	v_add_f32_e32 v39, v80, v60
	v_sub_f32_e32 v60, v80, v60
	v_sub_f32_e32 v66, v32, v15
	;; [unrolled: 1-line block ×4, first 2 shown]
	v_fmamk_f32 v80, v78, 0x3f737871, v4
	v_dual_fmac_f32 v4, 0xbf737871, v78 :: v_dual_add_f32 v59, v59, v63
	s_delay_alu instid0(VALU_DEP_3) | instskip(NEXT) | instid1(VALU_DEP_3)
	v_dual_add_f32 v75, v75, v36 :: v_dual_add_f32 v76, v76, v79
	v_fmac_f32_e32 v80, 0xbf167918, v66
	s_delay_alu instid0(VALU_DEP_3) | instskip(SKIP_1) | instid1(VALU_DEP_4)
	v_dual_fmac_f32 v4, 0x3f167918, v66 :: v_dual_add_f32 v63, v71, v59
	v_sub_f32_e32 v59, v71, v59
	v_add_f32_e32 v75, v75, v38
	v_sub_f32_e32 v36, v36, v38
	s_delay_alu instid0(VALU_DEP_4)
	v_fmac_f32_e32 v4, 0x3e9e377a, v76
	v_add_f32_e32 v71, v77, v56
	v_dual_sub_f32 v56, v77, v56 :: v_dual_fmamk_f32 v77, v66, 0xbf737871, v40
	v_fmac_f32_e32 v40, 0x3f737871, v66
	v_add_f32_e32 v66, v8, v32
	v_fmac_f32_e32 v80, 0x3e9e377a, v76
	v_sub_f32_e32 v76, v15, v18
	v_fmac_f32_e32 v77, 0xbf167918, v78
	v_fmac_f32_e32 v40, 0x3f167918, v78
	v_add_f32_e32 v66, v66, v37
	v_dual_add_f32 v78, v32, v15 :: v_dual_sub_f32 v79, v13, v12
	s_delay_alu instid0(VALU_DEP_3) | instskip(NEXT) | instid1(VALU_DEP_3)
	v_fmac_f32_e32 v40, 0x3e9e377a, v69
	v_add_f32_e32 v66, v66, v18
	s_delay_alu instid0(VALU_DEP_1) | instskip(SKIP_4) | instid1(VALU_DEP_3)
	v_dual_add_f32 v66, v66, v15 :: v_dual_fmac_f32 v77, 0x3e9e377a, v69
	v_add_f32_e32 v69, v75, v19
	v_add_f32_e32 v75, v37, v18
	v_sub_f32_e32 v19, v35, v19
	v_dual_sub_f32 v35, v32, v37 :: v_dual_sub_f32 v32, v37, v32
	v_fma_f32 v38, -0.5, v75, v8
	s_delay_alu instid0(VALU_DEP_2) | instskip(SKIP_1) | instid1(VALU_DEP_3)
	v_dual_fmac_f32 v8, -0.5, v78 :: v_dual_add_f32 v35, v35, v76
	v_sub_f32_e32 v76, v20, v12
	v_dual_add_f32 v78, v30, v11 :: v_dual_fmamk_f32 v37, v19, 0x3f737871, v38
	v_fmac_f32_e32 v38, 0xbf737871, v19
	s_delay_alu instid0(VALU_DEP_2) | instskip(NEXT) | instid1(VALU_DEP_2)
	v_fmac_f32_e32 v37, 0x3f167918, v36
	v_fmac_f32_e32 v38, 0xbf167918, v36
	s_delay_alu instid0(VALU_DEP_2) | instskip(SKIP_2) | instid1(VALU_DEP_4)
	v_fmac_f32_e32 v37, 0x3e9e377a, v35
	v_dual_sub_f32 v15, v18, v15 :: v_dual_fmamk_f32 v18, v36, 0xbf737871, v8
	v_fmac_f32_e32 v8, 0x3f737871, v36
	v_fmac_f32_e32 v38, 0x3e9e377a, v35
	v_sub_f32_e32 v35, v30, v31
	s_delay_alu instid0(VALU_DEP_4) | instskip(SKIP_4) | instid1(VALU_DEP_4)
	v_add_f32_e32 v15, v32, v15
	v_fmac_f32_e32 v18, 0x3f167918, v19
	v_fmac_f32_e32 v8, 0xbf167918, v19
	v_sub_f32_e32 v32, v29, v13
	v_sub_f32_e32 v36, v11, v14
	v_dual_fmac_f32 v18, 0x3e9e377a, v15 :: v_dual_add_f32 v75, v31, v14
	s_delay_alu instid0(VALU_DEP_4) | instskip(NEXT) | instid1(VALU_DEP_3)
	v_dual_fmac_f32 v8, 0x3e9e377a, v15 :: v_dual_add_f32 v15, v5, v30
	v_add_f32_e32 v35, v35, v36
	v_sub_f32_e32 v36, v31, v30
	s_delay_alu instid0(VALU_DEP_4) | instskip(SKIP_2) | instid1(VALU_DEP_3)
	v_fma_f32 v19, -0.5, v75, v5
	v_dual_fmac_f32 v5, -0.5, v78 :: v_dual_sub_f32 v78, v14, v11
	v_add_f32_e32 v15, v15, v31
	v_fmamk_f32 v75, v32, 0xbf737871, v19
	s_delay_alu instid0(VALU_DEP_3) | instskip(NEXT) | instid1(VALU_DEP_3)
	v_dual_fmac_f32 v19, 0x3f737871, v32 :: v_dual_add_f32 v36, v36, v78
	v_dual_add_f32 v78, v29, v13 :: v_dual_add_f32 v15, v15, v14
	s_delay_alu instid0(VALU_DEP_3) | instskip(NEXT) | instid1(VALU_DEP_3)
	v_fmac_f32_e32 v75, 0xbf167918, v76
	v_dual_fmac_f32 v19, 0x3f167918, v76 :: v_dual_sub_f32 v14, v31, v14
	s_delay_alu instid0(VALU_DEP_3) | instskip(NEXT) | instid1(VALU_DEP_3)
	v_add_f32_e32 v15, v15, v11
	v_fmac_f32_e32 v75, 0x3e9e377a, v35
	s_delay_alu instid0(VALU_DEP_3) | instskip(SKIP_3) | instid1(VALU_DEP_3)
	v_fmac_f32_e32 v19, 0x3e9e377a, v35
	v_fmamk_f32 v35, v76, 0x3f737871, v5
	v_fmac_f32_e32 v5, 0xbf737871, v76
	v_dual_add_f32 v76, v20, v12 :: v_dual_sub_f32 v11, v30, v11
	v_dual_sub_f32 v30, v20, v29 :: v_dual_fmac_f32 v35, 0xbf167918, v32
	s_delay_alu instid0(VALU_DEP_3) | instskip(NEXT) | instid1(VALU_DEP_3)
	v_fmac_f32_e32 v5, 0x3f167918, v32
	v_fma_f32 v31, -0.5, v76, v28
	v_add_f32_e32 v76, v28, v29
	v_fmac_f32_e32 v28, -0.5, v78
	v_dual_sub_f32 v78, v12, v13 :: v_dual_sub_f32 v29, v29, v20
	s_delay_alu instid0(VALU_DEP_4) | instskip(NEXT) | instid1(VALU_DEP_3)
	v_fmamk_f32 v81, v11, 0x3f737871, v31
	v_dual_fmac_f32 v31, 0xbf737871, v11 :: v_dual_fmamk_f32 v32, v14, 0xbf737871, v28
	v_fmac_f32_e32 v28, 0x3f737871, v14
	s_delay_alu instid0(VALU_DEP_4) | instskip(SKIP_1) | instid1(VALU_DEP_4)
	v_dual_add_f32 v30, v30, v78 :: v_dual_add_f32 v29, v29, v79
	v_add_f32_e32 v20, v76, v20
	v_fmac_f32_e32 v32, 0x3f167918, v11
	s_delay_alu instid0(VALU_DEP_4) | instskip(NEXT) | instid1(VALU_DEP_3)
	v_dual_fmac_f32 v28, 0xbf167918, v11 :: v_dual_fmac_f32 v31, 0xbf167918, v14
	v_dual_fmac_f32 v81, 0x3f167918, v14 :: v_dual_add_f32 v12, v20, v12
	s_delay_alu instid0(VALU_DEP_3) | instskip(NEXT) | instid1(VALU_DEP_3)
	v_fmac_f32_e32 v32, 0x3e9e377a, v30
	v_dual_fmac_f32 v28, 0x3e9e377a, v30 :: v_dual_fmac_f32 v31, 0x3e9e377a, v29
	v_fmac_f32_e32 v35, 0x3e9e377a, v36
	v_fmac_f32_e32 v5, 0x3e9e377a, v36
	;; [unrolled: 1-line block ×3, first 2 shown]
	s_delay_alu instid0(VALU_DEP_4)
	v_dual_mul_f32 v11, 0xbf737871, v28 :: v_dual_add_f32 v12, v12, v13
	v_mul_f32_e32 v13, 0xbf737871, v32
	v_mul_f32_e32 v29, 0xbf167918, v31
	v_mul_f32_e32 v32, 0x3e9e377a, v32
	v_mul_f32_e32 v31, 0xbf4f1bbd, v31
	v_mul_f32_e32 v14, 0xbf167918, v81
	v_fmac_f32_e32 v11, 0xbe9e377a, v5
	v_mul_f32_e32 v30, 0x3f4f1bbd, v81
	v_fmac_f32_e32 v29, 0xbf4f1bbd, v19
	v_mul_f32_e32 v28, 0xbe9e377a, v28
	v_fmac_f32_e32 v32, 0x3f737871, v35
	v_fmac_f32_e32 v31, 0x3f167918, v19
	v_and_b32_e32 v19, 0xffff, v22
	v_fmac_f32_e32 v14, 0x3f4f1bbd, v75
	v_add_f32_e32 v20, v4, v11
	v_sub_f32_e32 v4, v4, v11
	v_fmac_f32_e32 v13, 0x3e9e377a, v35
	v_dual_fmac_f32 v30, 0x3f167918, v75 :: v_dual_add_f32 v35, v40, v29
	v_dual_fmac_f32 v28, 0x3f737871, v5 :: v_dual_add_f32 v11, v69, v15
	v_dual_add_f32 v76, v66, v12 :: v_dual_sub_f32 v5, v69, v15
	v_add_f32_e32 v69, v18, v32
	v_dual_sub_f32 v15, v40, v29 :: v_dual_sub_f32 v40, v66, v12
	v_sub_f32_e32 v32, v18, v32
	v_mul_u32_u24_e32 v12, 0x4b0, v19
	v_lshlrev_b32_e32 v18, 2, v27
	v_dual_add_f32 v36, v77, v14 :: v_dual_and_b32 v19, 0xffff, v23
	v_dual_sub_f32 v14, v77, v14 :: v_dual_add_f32 v77, v8, v28
	v_sub_f32_e32 v8, v8, v28
	v_add_f32_e32 v78, v37, v30
	v_sub_f32_e32 v30, v37, v30
	v_add3_u32 v37, 0, v12, v18
	v_mul_u32_u24_e32 v12, 0x4b0, v19
	v_lshlrev_b32_e32 v18, 2, v26
	ds_store_2addr_b32 v37, v16, v48 offset1:30
	ds_store_2addr_b32 v37, v50, v52 offset0:60 offset1:90
	ds_store_2addr_b32 v37, v53, v51 offset0:120 offset1:150
	v_lshlrev_b32_e32 v16, 2, v25
	v_add3_u32 v48, 0, v12, v18
	v_mul_u32_u24_e32 v12, 0x4b0, v24
	v_add_f32_e32 v105, v38, v31
	v_dual_sub_f32 v31, v38, v31 :: v_dual_add_nc_u32 v38, 0x200, v37
	ds_store_2addr_b32 v37, v17, v21 offset0:180 offset1:210
	ds_store_2addr_b32 v38, v46, v49 offset0:112 offset1:142
	ds_store_2addr_b32 v48, v63, v68 offset1:30
	v_add3_u32 v49, 0, v12, v16
	v_dual_add_f32 v75, v80, v13 :: v_dual_add_nc_u32 v46, 0x200, v48
	v_sub_f32_e32 v13, v80, v13
	ds_store_2addr_b32 v48, v39, v61 offset0:60 offset1:90
	ds_store_2addr_b32 v48, v67, v59 offset0:120 offset1:150
	;; [unrolled: 1-line block ×4, first 2 shown]
	v_add_nc_u32_e32 v39, 0x200, v49
	ds_store_2addr_b32 v49, v11, v36 offset1:30
	ds_store_2addr_b32 v49, v75, v20 offset0:60 offset1:90
	ds_store_2addr_b32 v49, v35, v5 offset0:120 offset1:150
	;; [unrolled: 1-line block ×4, first 2 shown]
	global_wb scope:SCOPE_SE
	s_wait_dscnt 0x0
	s_barrier_signal -1
	s_barrier_wait -1
	global_inv scope:SCOPE_SE
	ds_load_2addr_b32 v[20:21], v0 offset1:90
	ds_load_2addr_b32 v[79:80], v90 offset0:132 offset1:222
	ds_load_2addr_b32 v[81:82], v89 offset0:8 offset1:98
	;; [unrolled: 1-line block ×14, first 2 shown]
	v_dual_mov_b32 v5, 0 :: v_dual_lshlrev_b32 v4, 1, v3
	global_wb scope:SCOPE_SE
	s_wait_dscnt 0x0
	s_barrier_signal -1
	s_barrier_wait -1
	global_inv scope:SCOPE_SE
	ds_store_2addr_b32 v37, v6, v9 offset1:30
	ds_store_2addr_b32 v37, v41, v45 offset0:60 offset1:90
	ds_store_2addr_b32 v37, v55, v42 offset0:120 offset1:150
	ds_store_2addr_b32 v37, v43, v44 offset0:180 offset1:210
	ds_store_2addr_b32 v38, v47, v54 offset0:112 offset1:142
	ds_store_2addr_b32 v48, v70, v71 offset1:30
	ds_store_2addr_b32 v48, v73, v72 offset0:60 offset1:90
	ds_store_2addr_b32 v48, v74, v58 offset0:120 offset1:150
	ds_store_2addr_b32 v48, v56, v65 offset0:180 offset1:210
	ds_store_2addr_b32 v46, v10, v64 offset0:112 offset1:142
	;; [unrolled: 5-line block ×3, first 2 shown]
	v_dual_mov_b32 v9, v5 :: v_dual_lshlrev_b32 v8, 1, v33
	v_lshlrev_b64_e32 v[6:7], 3, v[4:5]
	v_dual_mov_b32 v11, v5 :: v_dual_lshlrev_b32 v10, 1, v34
	v_add_nc_u32_e32 v42, 0x10e, v3
	s_delay_alu instid0(VALU_DEP_4)
	v_lshlrev_b64_e32 v[8:9], 3, v[8:9]
	v_subrev_nc_u32_e32 v30, 30, v3
	v_add_co_u32 v6, s0, s4, v6
	s_wait_alu 0xf1ff
	v_add_co_ci_u32_e64 v7, s0, s5, v7, s0
	v_lshlrev_b64_e32 v[31:32], 3, v[10:11]
	v_add_co_u32 v10, s0, s4, v8
	s_wait_alu 0xf1ff
	v_add_co_ci_u32_e64 v11, s0, s5, v9, s0
	v_cmp_gt_u32_e64 s0, 30, v3
	global_wb scope:SCOPE_SE
	s_wait_dscnt 0x0
	s_barrier_signal -1
	s_barrier_wait -1
	global_inv scope:SCOPE_SE
	s_wait_alu 0xf1ff
	v_cndmask_b32_e64 v30, v30, v42, s0
	v_add_co_u32 v8, s0, s4, v31
	s_wait_alu 0xf1ff
	v_add_co_ci_u32_e64 v9, s0, s5, v32, s0
	global_load_b128 v[32:35], v[6:7], off offset:2376
	v_dual_mov_b32 v41, v5 :: v_dual_lshlrev_b32 v40, 1, v30
	v_dual_mov_b32 v46, v5 :: v_dual_add_nc_u32 v45, 0x78, v4
	global_load_b128 v[36:39], v[10:11], off offset:2376
	v_add_nc_u32_e32 v44, 0x21c, v3
	v_lshlrev_b64_e32 v[40:41], 3, v[40:41]
	global_load_b128 v[47:50], v[8:9], off offset:2376
	v_lshlrev_b64_e32 v[51:52], 3, v[45:46]
	v_add_nc_u32_e32 v46, 0x276, v3
	v_lshrrev_b16 v31, 2, v44
	v_add_nc_u32_e32 v43, 0x2d0, v3
	v_add_co_u32 v40, s0, s4, v40
	s_wait_alu 0xf1ff
	v_add_co_ci_u32_e64 v41, s0, s5, v41, s0
	v_and_b32_e32 v31, 0xffff, v31
	v_lshrrev_b16 v45, 2, v46
	v_add_co_u32 v55, s0, s4, v51
	s_wait_alu 0xf1ff
	v_add_co_ci_u32_e64 v56, s0, s5, v52, s0
	v_mul_u32_u24_e32 v31, 0x6d3b, v31
	global_load_b128 v[51:54], v[40:41], off offset:2376
	v_and_b32_e32 v40, 0xffff, v45
	v_lshrrev_b16 v41, 2, v43
	v_add_nc_u32_e32 v4, 0x12c, v4
	v_lshrrev_b32_e32 v31, 21, v31
	v_add_nc_u32_e32 v45, 0x32a, v3
	v_mul_u32_u24_e32 v59, 0x6d3b, v40
	v_and_b32_e32 v61, 0xffff, v41
	v_lshlrev_b64_e32 v[40:41], 3, v[4:5]
	v_mul_lo_u16 v60, 0x12c, v31
	global_load_b128 v[55:58], v[55:56], off offset:2376
	v_lshrrev_b32_e32 v4, 21, v59
	v_lshrrev_b16 v59, 2, v45
	v_mul_u32_u24_e32 v61, 0x6d3b, v61
	v_add_co_u32 v40, s0, s4, v40
	v_sub_nc_u16 v60, v44, v60
	s_wait_alu 0xf1ff
	v_add_co_ci_u32_e64 v41, s0, s5, v41, s0
	v_mul_lo_u16 v4, 0x12c, v4
	v_and_b32_e32 v63, 0xffff, v59
	v_lshrrev_b32_e32 v64, 21, v61
	v_and_b32_e32 v111, 0xffff, v60
	global_load_b128 v[59:62], v[40:41], off offset:2376
	v_sub_nc_u16 v4, v46, v4
	v_mul_u32_u24_e32 v40, 0x6d3b, v63
	v_mul_lo_u16 v41, 0x12c, v64
	v_lshlrev_b32_e32 v63, 4, v111
	v_cmp_lt_u32_e64 s0, 29, v3
	v_and_b32_e32 v112, 0xffff, v4
	v_lshrrev_b32_e32 v4, 21, v40
	v_sub_nc_u16 v40, v43, v41
	global_load_b128 v[63:66], v63, s[4:5] offset:2376
	v_lshlrev_b32_e32 v41, 4, v112
	v_mul_lo_u16 v4, 0x12c, v4
	v_and_b32_e32 v113, 0xffff, v40
	global_load_b128 v[67:70], v41, s[4:5] offset:2376
	v_sub_nc_u16 v4, v45, v4
	v_lshlrev_b32_e32 v40, 4, v113
	s_delay_alu instid0(VALU_DEP_2)
	v_and_b32_e32 v114, 0xffff, v4
	global_load_b128 v[71:74], v40, s[4:5] offset:2376
	v_lshlrev_b32_e32 v4, 4, v114
	global_load_b128 v[75:78], v4, s[4:5] offset:2376
	ds_load_2addr_b32 v[40:41], v90 offset0:132 offset1:222
	ds_load_2addr_b32 v[105:106], v89 offset0:8 offset1:98
	;; [unrolled: 1-line block ×4, first 2 shown]
	s_wait_loadcnt_dscnt 0x903
	v_mul_f32_e32 v115, v40, v33
	v_mul_f32_e32 v4, v79, v33
	s_wait_dscnt 0x2
	v_mul_f32_e32 v116, v105, v35
	v_mul_f32_e32 v33, v81, v35
	v_fmac_f32_e32 v115, v79, v32
	v_fma_f32 v79, v40, v32, -v4
	s_wait_loadcnt 0x8
	v_mul_f32_e32 v117, v41, v37
	v_mul_f32_e32 v32, v80, v37
	v_fmac_f32_e32 v116, v81, v34
	v_fma_f32 v4, v105, v34, -v33
	v_mul_f32_e32 v81, v106, v39
	v_fmac_f32_e32 v117, v80, v36
	v_fma_f32 v80, v41, v36, -v32
	v_mul_f32_e32 v36, v82, v39
	ds_load_2addr_b32 v[32:33], v96 offset0:108 offset1:198
	ds_load_2addr_b32 v[34:35], v97 offset0:112 offset1:202
	v_fma_f32 v105, v106, v38, -v36
	s_wait_loadcnt_dscnt 0x702
	v_mul_f32_e32 v106, v109, v50
	v_mul_f32_e32 v36, v85, v50
	s_wait_loadcnt 0x6
	v_mul_f32_e32 v118, v110, v54
	s_delay_alu instid0(VALU_DEP_3) | instskip(NEXT) | instid1(VALU_DEP_3)
	v_dual_fmac_f32 v106, v85, v49 :: v_dual_mul_f32 v37, v83, v48
	v_fma_f32 v85, v109, v49, -v36
	v_dual_fmac_f32 v81, v82, v38 :: v_dual_mul_f32 v82, v107, v48
	s_delay_alu instid0(VALU_DEP_4)
	v_fmac_f32_e32 v118, v86, v53
	v_mul_f32_e32 v40, v86, v54
	ds_load_2addr_b32 v[38:39], v99 offset0:36 offset1:126
	v_fmac_f32_e32 v82, v83, v47
	v_fma_f32 v83, v107, v47, -v37
	v_mul_f32_e32 v107, v108, v52
	s_wait_loadcnt_dscnt 0x502
	v_mul_f32_e32 v86, v32, v56
	v_mul_f32_e32 v41, v87, v56
	v_fma_f32 v109, v110, v53, -v40
	v_dual_mul_f32 v40, v103, v58 :: v_dual_fmac_f32 v107, v84, v51
	s_delay_alu instid0(VALU_DEP_4) | instskip(SKIP_1) | instid1(VALU_DEP_2)
	v_dual_mul_f32 v37, v84, v52 :: v_dual_fmac_f32 v86, v87, v55
	v_lshl_add_u32 v110, v112, 2, 0
	v_fma_f32 v84, v108, v51, -v37
	ds_load_2addr_b32 v[36:37], v101 offset0:160 offset1:250
	s_wait_dscnt 0x2
	v_mul_f32_e32 v108, v34, v58
	v_fma_f32 v58, v32, v55, -v41
	s_wait_loadcnt 0x4
	v_mul_f32_e32 v87, v33, v60
	v_mul_f32_e32 v32, v88, v60
	;; [unrolled: 1-line block ×3, first 2 shown]
	v_fmac_f32_e32 v108, v103, v57
	v_fma_f32 v57, v34, v57, -v40
	ds_load_2addr_b32 v[40:41], v98 offset0:84 offset1:174
	v_fmac_f32_e32 v87, v88, v59
	v_fma_f32 v59, v33, v59, -v32
	ds_load_2addr_b32 v[32:33], v102 offset0:88 offset1:178
	v_mul_f32_e32 v34, v104, v62
	s_wait_loadcnt 0x3
	v_mul_f32_e32 v47, v28, v64
	v_fmac_f32_e32 v60, v104, v61
	v_add_nc_u32_e32 v88, 0xe00, v0
	v_fma_f32 v61, v35, v61, -v34
	v_mul_f32_e32 v34, v26, v66
	s_wait_dscnt 0x2
	v_mul_f32_e32 v62, v36, v64
	v_mul_f32_e32 v64, v38, v66
	s_wait_loadcnt 0x2
	v_mul_f32_e32 v66, v37, v68
	s_delay_alu instid0(VALU_DEP_3) | instskip(NEXT) | instid1(VALU_DEP_3)
	v_fmac_f32_e32 v62, v28, v63
	v_fmac_f32_e32 v64, v26, v65
	v_mul_f32_e32 v26, v29, v68
	v_mul_f32_e32 v68, v39, v70
	;; [unrolled: 1-line block ×3, first 2 shown]
	v_fmac_f32_e32 v66, v29, v67
	s_wait_loadcnt_dscnt 0x101
	v_mul_f32_e32 v70, v40, v72
	v_fma_f32 v67, v37, v67, -v26
	v_mul_f32_e32 v26, v24, v72
	s_wait_dscnt 0x0
	v_mul_f32_e32 v72, v32, v74
	v_fmac_f32_e32 v68, v27, v69
	v_fmac_f32_e32 v70, v24, v71
	v_mul_f32_e32 v24, v22, v74
	s_wait_loadcnt 0x0
	v_mul_f32_e32 v74, v41, v76
	v_fma_f32 v71, v40, v71, -v26
	v_mul_f32_e32 v26, v25, v76
	v_fmac_f32_e32 v72, v22, v73
	v_add_f32_e32 v22, v115, v116
	v_fmac_f32_e32 v74, v25, v75
	v_mul_f32_e32 v76, v33, v78
	v_fma_f32 v75, v41, v75, -v26
	v_sub_f32_e32 v26, v79, v4
	v_fma_f32 v22, -0.5, v22, v20
	v_fma_f32 v73, v32, v73, -v24
	v_mul_f32_e32 v25, v23, v78
	v_fmac_f32_e32 v76, v23, v77
	v_fma_f32 v63, v36, v63, -v47
	v_fmamk_f32 v23, v26, 0xbf5db3d7, v22
	v_fmac_f32_e32 v22, 0x3f5db3d7, v26
	v_add_f32_e32 v26, v18, v82
	v_add_f32_e32 v24, v117, v81
	v_add_f32_e32 v27, v21, v117
	v_fma_f32 v77, v33, v77, -v25
	v_add_f32_e32 v20, v20, v115
	ds_load_2addr_b32 v[47:48], v0 offset1:90
	ds_load_2addr_b32 v[49:50], v91 offset0:52 offset1:142
	ds_load_2addr_b32 v[51:52], v100 offset0:104 offset1:194
	;; [unrolled: 1-line block ×4, first 2 shown]
	v_dual_fmac_f32 v21, -0.5, v24 :: v_dual_sub_f32 v24, v80, v105
	global_wb scope:SCOPE_SE
	s_wait_dscnt 0x0
	v_add_f32_e32 v20, v20, v116
	s_barrier_signal -1
	s_barrier_wait -1
	v_fmamk_f32 v25, v24, 0xbf5db3d7, v21
	v_dual_fmac_f32 v21, 0x3f5db3d7, v24 :: v_dual_add_f32 v24, v82, v106
	global_inv scope:SCOPE_SE
	v_add_f32_e32 v26, v26, v106
	v_fma_f32 v65, v38, v65, -v34
	ds_store_2addr_b32 v94, v22, v21 offset0:88 offset1:178
	v_fma_f32 v18, -0.5, v24, v18
	v_sub_f32_e32 v24, v83, v85
	v_add_f32_e32 v27, v27, v81
	v_fma_f32 v69, v39, v69, -v28
	v_sub_f32_e32 v82, v82, v106
	ds_store_2addr_b32 v0, v20, v27 offset1:90
	v_fmamk_f32 v20, v24, 0xbf5db3d7, v18
	v_dual_fmac_f32 v18, 0x3f5db3d7, v24 :: v_dual_add_f32 v21, v107, v118
	v_add_f32_e32 v22, v19, v107
	v_add_f32_e32 v24, v86, v108
	ds_store_2addr_b32 v100, v25, v20 offset0:134 offset1:224
	v_dual_fmac_f32 v19, -0.5, v21 :: v_dual_lshlrev_b32 v20, 2, v30
	v_sub_f32_e32 v21, v84, v109
	ds_store_b32 v0, v18 offset:3120
	v_add_f32_e32 v18, v17, v87
	v_dual_add_f32 v22, v22, v118 :: v_dual_fmamk_f32 v25, v21, 0xbf5db3d7, v19
	v_fmac_f32_e32 v19, 0x3f5db3d7, v21
	v_fma_f32 v21, -0.5, v24, v16
	v_add_f32_e32 v16, v16, v86
	ds_store_2addr_b32 v91, v26, v23 offset0:52 offset1:172
	s_wait_alu 0xf1ff
	v_cndmask_b32_e64 v23, 0, 0xe10, s0
	v_add_f32_e32 v18, v18, v60
	v_add_f32_e32 v16, v16, v108
	s_delay_alu instid0(VALU_DEP_3)
	v_add3_u32 v78, 0, v23, v20
	v_dual_add_f32 v20, v87, v60 :: v_dual_sub_f32 v23, v58, v57
	ds_store_b32 v78, v22
	v_dual_add_f32 v22, v15, v66 :: v_dual_fmac_f32 v17, -0.5, v20
	v_sub_f32_e32 v20, v59, v61
	v_fmamk_f32 v24, v23, 0xbf5db3d7, v21
	v_fmac_f32_e32 v21, 0x3f5db3d7, v23
	ds_store_b32 v78, v19 offset:2400
	ds_store_b32 v78, v25 offset:1200
	v_fmamk_f32 v23, v20, 0xbf5db3d7, v17
	v_fmac_f32_e32 v17, 0x3f5db3d7, v20
	v_add_f32_e32 v20, v79, v4
	ds_store_2addr_b32 v98, v21, v17 offset0:24 offset1:114
	ds_store_2addr_b32 v88, v16, v18 offset0:64 offset1:154
	;; [unrolled: 1-line block ×3, first 2 shown]
	v_add_f32_e32 v17, v62, v64
	v_fma_f32 v103, -0.5, v20, v47
	v_add_f32_e32 v16, v80, v105
	v_sub_f32_e32 v18, v63, v65
	v_mul_u32_u24_e32 v20, 0xe10, v31
	v_fma_f32 v17, -0.5, v17, v14
	v_sub_f32_e32 v19, v115, v116
	v_dual_add_f32 v80, v48, v80 :: v_dual_lshlrev_b32 v21, 2, v111
	v_fmac_f32_e32 v48, -0.5, v16
	v_sub_f32_e32 v16, v117, v81
	v_add_f32_e32 v14, v14, v62
	s_delay_alu instid0(VALU_DEP_4)
	v_add3_u32 v81, 0, v20, v21
	v_fmamk_f32 v20, v18, 0xbf5db3d7, v17
	v_fmamk_f32 v104, v19, 0x3f5db3d7, v103
	v_fmac_f32_e32 v103, 0xbf5db3d7, v19
	v_dual_add_f32 v19, v66, v68 :: v_dual_fmamk_f32 v112, v16, 0x3f5db3d7, v48
	v_dual_add_f32 v14, v14, v64 :: v_dual_add_f32 v21, v12, v70
	v_fmac_f32_e32 v17, 0x3f5db3d7, v18
	s_delay_alu instid0(VALU_DEP_3)
	v_fmac_f32_e32 v15, -0.5, v19
	v_dual_sub_f32 v19, v67, v69 :: v_dual_fmac_f32 v48, 0xbf5db3d7, v16
	ds_store_b32 v81, v14
	ds_store_b32 v81, v20 offset:1200
	ds_store_b32 v81, v17 offset:2400
	v_add_f32_e32 v14, v21, v72
	v_dual_add_f32 v17, v74, v76 :: v_dual_fmamk_f32 v18, v19, 0xbf5db3d7, v15
	v_sub_f32_e32 v20, v71, v73
	v_add_f32_e32 v47, v47, v79
	v_fmac_f32_e32 v15, 0x3f5db3d7, v19
	v_add_f32_e32 v19, v22, v68
	v_dual_add_f32 v22, v70, v72 :: v_dual_add_f32 v21, v13, v74
	s_delay_alu instid0(VALU_DEP_4) | instskip(SKIP_1) | instid1(VALU_DEP_3)
	v_dual_add_f32 v4, v47, v4 :: v_dual_add_f32 v47, v80, v105
	v_add_f32_e32 v80, v49, v83
	v_fma_f32 v12, -0.5, v22, v12
	v_fmac_f32_e32 v13, -0.5, v17
	v_sub_f32_e32 v17, v75, v77
	v_add_f32_e32 v79, v83, v85
	v_lshl_add_u32 v111, v113, 2, 0
	v_fmamk_f32 v16, v20, 0xbf5db3d7, v12
	v_fmac_f32_e32 v12, 0x3f5db3d7, v20
	v_fmamk_f32 v20, v17, 0xbf5db3d7, v13
	v_add_f32_e32 v21, v21, v76
	v_fmac_f32_e32 v13, 0x3f5db3d7, v17
	v_lshl_add_u32 v113, v114, 2, 0
	ds_store_b32 v110, v19 offset:7200
	ds_store_b32 v110, v18 offset:8400
	;; [unrolled: 1-line block ×9, first 2 shown]
	global_wb scope:SCOPE_SE
	s_wait_dscnt 0x0
	s_barrier_signal -1
	s_barrier_wait -1
	global_inv scope:SCOPE_SE
	ds_load_2addr_b32 v[36:37], v0 offset1:90
	ds_load_2addr_b32 v[38:39], v90 offset0:132 offset1:222
	ds_load_2addr_b32 v[40:41], v89 offset0:8 offset1:98
	;; [unrolled: 1-line block ×14, first 2 shown]
	global_wb scope:SCOPE_SE
	s_wait_dscnt 0x0
	s_barrier_signal -1
	s_barrier_wait -1
	global_inv scope:SCOPE_SE
	ds_store_2addr_b32 v94, v103, v48 offset0:88 offset1:178
	v_add_f32_e32 v48, v84, v109
	ds_store_2addr_b32 v0, v4, v47 offset1:90
	v_add_f32_e32 v4, v80, v85
	v_sub_f32_e32 v80, v86, v108
	v_fma_f32 v49, -0.5, v79, v49
	v_add_f32_e32 v79, v50, v84
	v_fmac_f32_e32 v50, -0.5, v48
	v_sub_f32_e32 v48, v107, v118
	v_sub_f32_e32 v62, v62, v64
	v_fmamk_f32 v47, v82, 0x3f5db3d7, v49
	ds_store_2addr_b32 v91, v4, v104 offset0:52 offset1:172
	ds_store_2addr_b32 v100, v112, v47 offset0:134 offset1:224
	v_fmamk_f32 v47, v48, 0x3f5db3d7, v50
	v_fmac_f32_e32 v50, 0xbf5db3d7, v48
	v_add_f32_e32 v48, v59, v61
	v_add_f32_e32 v4, v79, v109
	;; [unrolled: 1-line block ×3, first 2 shown]
	v_fmac_f32_e32 v49, 0xbf5db3d7, v82
	v_dual_add_f32 v58, v51, v58 :: v_dual_add_f32 v59, v52, v59
	v_fmac_f32_e32 v52, -0.5, v48
	s_delay_alu instid0(VALU_DEP_4) | instskip(NEXT) | instid1(VALU_DEP_3)
	v_fma_f32 v51, -0.5, v79, v51
	v_dual_sub_f32 v48, v87, v60 :: v_dual_add_f32 v57, v58, v57
	s_delay_alu instid0(VALU_DEP_2) | instskip(NEXT) | instid1(VALU_DEP_2)
	v_fmamk_f32 v58, v80, 0x3f5db3d7, v51
	v_fmamk_f32 v60, v48, 0x3f5db3d7, v52
	v_fmac_f32_e32 v51, 0xbf5db3d7, v80
	v_fmac_f32_e32 v52, 0xbf5db3d7, v48
	v_add_f32_e32 v48, v67, v69
	v_add_f32_e32 v59, v59, v61
	;; [unrolled: 1-line block ×4, first 2 shown]
	s_delay_alu instid0(VALU_DEP_2) | instskip(SKIP_1) | instid1(VALU_DEP_3)
	v_fma_f32 v53, -0.5, v61, v53
	v_dual_add_f32 v61, v54, v67 :: v_dual_fmac_f32 v54, -0.5, v48
	v_dual_sub_f32 v48, v66, v68 :: v_dual_add_f32 v63, v63, v65
	s_delay_alu instid0(VALU_DEP_3) | instskip(SKIP_1) | instid1(VALU_DEP_3)
	v_fmamk_f32 v64, v62, 0x3f5db3d7, v53
	v_fmac_f32_e32 v53, 0xbf5db3d7, v62
	v_dual_sub_f32 v67, v70, v72 :: v_dual_fmamk_f32 v62, v48, 0x3f5db3d7, v54
	v_fmac_f32_e32 v54, 0xbf5db3d7, v48
	v_add_f32_e32 v48, v75, v77
	v_add_f32_e32 v65, v71, v73
	v_dual_add_f32 v61, v61, v69 :: v_dual_add_f32 v66, v55, v71
	s_delay_alu instid0(VALU_DEP_2) | instskip(NEXT) | instid1(VALU_DEP_4)
	v_fma_f32 v55, -0.5, v65, v55
	v_dual_add_f32 v65, v56, v75 :: v_dual_fmac_f32 v56, -0.5, v48
	v_sub_f32_e32 v48, v74, v76
	s_delay_alu instid0(VALU_DEP_4) | instskip(NEXT) | instid1(VALU_DEP_3)
	v_add_f32_e32 v66, v66, v73
	v_dual_fmamk_f32 v68, v67, 0x3f5db3d7, v55 :: v_dual_add_f32 v65, v65, v77
	v_fmac_f32_e32 v55, 0xbf5db3d7, v67
	s_delay_alu instid0(VALU_DEP_4)
	v_fmamk_f32 v67, v48, 0x3f5db3d7, v56
	v_fmac_f32_e32 v56, 0xbf5db3d7, v48
	ds_store_b32 v0, v49 offset:3120
	ds_store_b32 v78, v4
	ds_store_b32 v78, v47 offset:1200
	ds_store_b32 v78, v50 offset:2400
	ds_store_2addr_b32 v88, v57, v59 offset0:64 offset1:154
	ds_store_2addr_b32 v96, v58, v60 offset0:108 offset1:198
	;; [unrolled: 1-line block ×3, first 2 shown]
	ds_store_b32 v81, v63
	ds_store_b32 v81, v64 offset:1200
	ds_store_b32 v81, v53 offset:2400
	;; [unrolled: 1-line block ×11, first 2 shown]
	global_wb scope:SCOPE_SE
	s_wait_dscnt 0x0
	s_barrier_signal -1
	s_barrier_wait -1
	global_inv scope:SCOPE_SE
	s_and_saveexec_b32 s0, vcc_lo
	s_cbranch_execz .LBB0_13
; %bb.12:
	s_clause 0x1
	global_load_b128 v[47:50], v[10:11], off offset:7176
	global_load_b128 v[51:54], v[6:7], off offset:7176
	v_lshlrev_b32_e32 v4, 1, v45
	s_delay_alu instid0(VALU_DEP_1) | instskip(SKIP_1) | instid1(VALU_DEP_2)
	v_lshlrev_b64_e32 v[6:7], 3, v[4:5]
	v_lshlrev_b32_e32 v4, 1, v43
	v_add_co_u32 v6, vcc_lo, s4, v6
	s_wait_alu 0xfffd
	s_delay_alu instid0(VALU_DEP_3)
	v_add_co_ci_u32_e32 v7, vcc_lo, s5, v7, vcc_lo
	global_load_b128 v[55:58], v[6:7], off offset:7176
	s_wait_loadcnt 0x1
	v_mul_f32_e32 v111, v40, v54
	v_lshlrev_b64_e32 v[10:11], 3, v[4:5]
	v_lshlrev_b32_e32 v4, 1, v46
	v_mul_hi_u32 v46, 0x91a2b3c5, v43
	s_delay_alu instid0(VALU_DEP_3) | instskip(SKIP_1) | instid1(VALU_DEP_4)
	v_add_co_u32 v10, vcc_lo, s4, v10
	s_wait_alu 0xfffd
	v_add_co_ci_u32_e32 v11, vcc_lo, s5, v11, vcc_lo
	global_load_b128 v[59:62], v[10:11], off offset:7176
	v_lshlrev_b64_e32 v[10:11], 3, v[4:5]
	v_lshlrev_b32_e32 v4, 1, v44
	global_load_b128 v[6:9], v[8:9], off offset:7176
	v_add_nc_u32_e32 v44, 0x1c2, v3
	v_add_co_u32 v10, vcc_lo, s4, v10
	s_wait_alu 0xfffd
	v_add_co_ci_u32_e32 v11, vcc_lo, s5, v11, vcc_lo
	global_load_b128 v[63:66], v[10:11], off offset:7176
	v_lshlrev_b64_e32 v[10:11], 3, v[4:5]
	v_lshlrev_b32_e32 v4, 1, v44
	v_mul_hi_u32 v44, 0x91a2b3c5, v44
	s_delay_alu instid0(VALU_DEP_3) | instskip(SKIP_1) | instid1(VALU_DEP_4)
	v_add_co_u32 v10, vcc_lo, s4, v10
	s_wait_alu 0xfffd
	v_add_co_ci_u32_e32 v11, vcc_lo, s5, v11, vcc_lo
	global_load_b128 v[67:70], v[10:11], off offset:7176
	v_lshlrev_b64_e32 v[10:11], 3, v[4:5]
	v_lshl_add_u32 v4, v3, 1, 0x2d0
	s_delay_alu instid0(VALU_DEP_2) | instskip(SKIP_1) | instid1(VALU_DEP_3)
	v_add_co_u32 v10, vcc_lo, s4, v10
	s_wait_alu 0xfffd
	v_add_co_ci_u32_e32 v11, vcc_lo, s5, v11, vcc_lo
	global_load_b128 v[71:74], v[10:11], off offset:7176
	v_lshlrev_b64_e32 v[10:11], 3, v[4:5]
	v_lshlrev_b32_e32 v4, 1, v42
	s_delay_alu instid0(VALU_DEP_2) | instskip(SKIP_1) | instid1(VALU_DEP_3)
	v_add_co_u32 v10, vcc_lo, s4, v10
	s_wait_alu 0xfffd
	v_add_co_ci_u32_e32 v11, vcc_lo, s5, v11, vcc_lo
	global_load_b128 v[75:78], v[10:11], off offset:7176
	v_lshlrev_b64_e32 v[10:11], 3, v[4:5]
	s_delay_alu instid0(VALU_DEP_1) | instskip(SKIP_1) | instid1(VALU_DEP_2)
	v_add_co_u32 v10, vcc_lo, s4, v10
	s_wait_alu 0xfffd
	v_add_co_ci_u32_e32 v11, vcc_lo, s5, v11, vcc_lo
	global_load_b128 v[79:82], v[10:11], off offset:7176
	ds_load_2addr_b32 v[10:11], v95 offset0:80 offset1:170
	ds_load_2addr_b32 v[83:84], v98 offset0:84 offset1:174
	;; [unrolled: 1-line block ×14, first 2 shown]
	ds_load_2addr_b32 v[42:43], v0 offset1:90
	v_lshrrev_b32_e32 v0, 9, v44
	v_mul_hi_u32 v93, 0x91a2b3c5, v45
	s_delay_alu instid0(VALU_DEP_1) | instskip(SKIP_2) | instid1(VALU_DEP_1)
	v_lshrrev_b32_e32 v93, 9, v93
	s_wait_dscnt 0x1
	v_mul_f32_e32 v54, v89, v54
	v_fmac_f32_e32 v54, v40, v53
	v_mov_b32_e32 v4, v5
	s_delay_alu instid0(VALU_DEP_1)
	v_lshlrev_b64_e32 v[44:45], 3, v[3:4]
	v_lshrrev_b32_e32 v3, 9, v46
	v_add_co_u32 v46, vcc_lo, s8, v1
	v_mul_u32_u24_e32 v4, 0x708, v0
	s_wait_alu 0xfffd
	v_add_co_ci_u32_e32 v110, vcc_lo, s9, v2, vcc_lo
	s_delay_alu instid0(VALU_DEP_3) | instskip(NEXT) | instid1(VALU_DEP_3)
	v_add_co_u32 v2, vcc_lo, v46, v44
	v_lshlrev_b64_e32 v[0:1], 3, v[4:5]
	v_mul_u32_u24_e32 v4, 0x708, v3
	s_wait_alu 0xfffd
	v_add_co_ci_u32_e32 v3, vcc_lo, v110, v45, vcc_lo
	v_mul_f32_e32 v110, v38, v52
	v_mul_f32_e32 v52, v108, v52
	v_lshlrev_b64_e32 v[44:45], 3, v[4:5]
	v_mul_u32_u24_e32 v4, 0x708, v93
	v_mul_f32_e32 v93, v41, v50
	v_mul_f32_e32 v50, v90, v50
	v_fmac_f32_e32 v52, v38, v51
	v_mul_f32_e32 v46, v39, v48
	v_add_co_u32 v0, vcc_lo, v2, v0
	v_fma_f32 v90, v49, v90, -v93
	s_delay_alu instid0(VALU_DEP_4) | instskip(NEXT) | instid1(VALU_DEP_4)
	v_add_f32_e32 v93, v52, v54
	v_fma_f32 v46, v47, v109, -v46
	v_fmac_f32_e32 v50, v41, v49
	v_mul_f32_e32 v48, v109, v48
	v_fma_f32 v41, v53, v89, -v111
	v_sub_f32_e32 v89, v52, v54
	v_add_f32_e32 v38, v46, v90
	s_wait_dscnt 0x0
	v_add_f32_e32 v40, v43, v46
	v_dual_fmac_f32 v48, v39, v47 :: v_dual_sub_f32 v53, v46, v90
	v_add_f32_e32 v52, v36, v52
	v_fma_f32 v38, -0.5, v38, v43
	s_wait_loadcnt 0x7
	v_mul_f32_e32 v43, v35, v58
	v_fma_f32 v39, v51, v108, -v110
	v_dual_add_f32 v47, v48, v50 :: v_dual_add_f32 v46, v37, v48
	v_add_f32_e32 v40, v40, v90
	v_sub_f32_e32 v51, v48, v50
	s_delay_alu instid0(VALU_DEP_4) | instskip(SKIP_3) | instid1(VALU_DEP_4)
	v_dual_add_f32 v49, v42, v39 :: v_dual_add_f32 v48, v39, v41
	v_sub_f32_e32 v108, v39, v41
	v_fma_f32 v37, -0.5, v47, v37
	v_add_f32_e32 v39, v46, v50
	v_add_f32_e32 v47, v49, v41
	v_fma_f32 v41, -0.5, v93, v36
	v_add_f32_e32 v46, v52, v54
	v_dual_mul_f32 v36, v33, v56 :: v_dual_fmamk_f32 v49, v51, 0xbf5db3d7, v38
	v_fmac_f32_e32 v38, 0x3f5db3d7, v51
	v_lshlrev_b64_e32 v[4:5], 3, v[4:5]
	s_wait_alu 0xfffd
	v_add_co_ci_u32_e32 v1, vcc_lo, v3, v1, vcc_lo
	v_add_co_u32 v44, vcc_lo, v2, v44
	s_wait_alu 0xfffd
	v_add_co_ci_u32_e32 v45, vcc_lo, v3, v45, vcc_lo
	v_add_co_u32 v4, vcc_lo, v2, v4
	s_wait_alu 0xfffd
	v_add_co_ci_u32_e32 v5, vcc_lo, v3, v5, vcc_lo
	s_wait_loadcnt 0x5
	v_mul_f32_e32 v90, v106, v9
	s_delay_alu instid0(VALU_DEP_1) | instskip(SKIP_3) | instid1(VALU_DEP_3)
	v_fmac_f32_e32 v90, v18, v8
	v_mul_f32_e32 v52, v84, v56
	v_mul_f32_e32 v56, v16, v7
	;; [unrolled: 1-line block ×3, first 2 shown]
	v_dual_fmac_f32 v52, v33, v55 :: v_dual_mul_f32 v33, v32, v60
	s_delay_alu instid0(VALU_DEP_2)
	v_fmac_f32_e32 v7, v16, v6
	v_mul_f32_e32 v54, v86, v58
	v_mul_f32_e32 v58, v18, v9
	v_fma_f32 v9, v55, v84, -v36
	v_fma_f32 v36, v57, v86, -v43
	v_mul_f32_e32 v43, v83, v60
	v_mul_f32_e32 v55, v85, v62
	v_fma_f32 v33, v59, v83, -v33
	v_fma_f32 v42, -0.5, v48, v42
	v_fmamk_f32 v48, v53, 0x3f5db3d7, v37
	v_fmac_f32_e32 v43, v32, v59
	s_wait_loadcnt 0x4
	v_mul_f32_e32 v59, v99, v66
	v_fmac_f32_e32 v37, 0xbf5db3d7, v53
	v_dual_fmac_f32 v54, v35, v57 :: v_dual_mul_f32 v35, v34, v62
	v_dual_fmac_f32 v55, v34, v61 :: v_dual_mul_f32 v34, v29, v66
	s_delay_alu instid0(VALU_DEP_4)
	v_fmac_f32_e32 v59, v29, v65
	v_fma_f32 v53, v6, v91, -v56
	v_fma_f32 v56, v8, v106, -v58
	;; [unrolled: 1-line block ×4, first 2 shown]
	s_wait_loadcnt 0x3
	v_dual_mul_f32 v58, v95, v64 :: v_dual_mul_f32 v29, v28, v70
	v_sub_f32_e32 v66, v53, v56
	v_mul_f32_e32 v32, v27, v64
	v_add_f32_e32 v18, v52, v54
	s_delay_alu instid0(VALU_DEP_4)
	v_fmac_f32_e32 v58, v27, v63
	v_fmamk_f32 v51, v89, 0xbf5db3d7, v42
	v_dual_fmac_f32 v42, 0x3f5db3d7, v89 :: v_dual_mul_f32 v65, v98, v70
	v_fma_f32 v85, v63, v95, -v32
	v_mul_f32_e32 v63, v94, v68
	v_add_f32_e32 v6, v9, v36
	v_sub_f32_e32 v57, v9, v36
	v_dual_sub_f32 v61, v7, v90 :: v_dual_sub_f32 v84, v33, v35
	s_delay_alu instid0(VALU_DEP_4)
	v_dual_fmac_f32 v63, v26, v67 :: v_dual_add_f32 v60, v53, v56
	v_add_f32_e32 v62, v104, v53
	v_add_f32_e32 v53, v12, v7
	s_wait_loadcnt 0x2
	v_dual_mul_f32 v27, v26, v68 :: v_dual_mul_f32 v68, v97, v74
	v_fma_f32 v32, -0.5, v60, v104
	v_fma_f32 v60, v69, v98, -v29
	v_add_f32_e32 v64, v7, v90
	v_add_f32_e32 v8, v11, v9
	v_fma_f32 v7, -0.5, v6, v11
	v_fma_f32 v6, -0.5, v18, v31
	v_sub_f32_e32 v16, v52, v54
	v_dual_add_f32 v52, v31, v52 :: v_dual_fmac_f32 v65, v28, v69
	v_fma_f32 v31, -0.5, v64, v12
	v_dual_mul_f32 v64, v23, v74 :: v_dual_add_f32 v9, v8, v36
	s_delay_alu instid0(VALU_DEP_3) | instskip(SKIP_1) | instid1(VALU_DEP_3)
	v_dual_add_f32 v8, v52, v54 :: v_dual_add_f32 v83, v43, v55
	v_fmamk_f32 v11, v57, 0x3f5db3d7, v6
	v_fma_f32 v64, v73, v97, -v64
	v_fmac_f32_e32 v68, v23, v73
	v_fmamk_f32 v12, v16, 0xbf5db3d7, v7
	v_dual_fmac_f32 v7, 0x3f5db3d7, v16 :: v_dual_sub_f32 v16, v58, v59
	s_wait_loadcnt 0x0
	v_dual_mul_f32 v73, v19, v82 :: v_dual_add_f32 v52, v10, v33
	v_fmamk_f32 v50, v108, 0x3f5db3d7, v41
	v_add_f32_e32 v18, v33, v35
	v_dual_add_f32 v33, v53, v90 :: v_dual_mul_f32 v74, v92, v80
	s_delay_alu instid0(VALU_DEP_4)
	v_add_f32_e32 v53, v52, v35
	v_fma_f32 v35, -0.5, v83, v30
	v_sub_f32_e32 v54, v43, v55
	v_add_f32_e32 v43, v30, v43
	v_add_f32_e32 v30, v58, v59
	v_mul_f32_e32 v70, v102, v76
	v_fmac_f32_e32 v74, v17, v79
	v_fmamk_f32 v28, v84, 0x3f5db3d7, v35
	v_fmac_f32_e32 v35, 0xbf5db3d7, v84
	v_add_f32_e32 v34, v62, v56
	v_add_f32_e32 v56, v25, v58
	v_fma_f32 v58, v67, v94, -v27
	v_mul_f32_e32 v67, v103, v72
	v_mul_f32_e32 v23, v22, v78
	v_fmamk_f32 v26, v66, 0x3f5db3d7, v31
	v_dual_fmac_f32 v31, 0xbf5db3d7, v66 :: v_dual_add_f32 v66, v63, v65
	s_delay_alu instid0(VALU_DEP_4)
	v_fmac_f32_e32 v67, v21, v71
	v_fmac_f32_e32 v70, v20, v75
	v_mul_f32_e32 v62, v21, v72
	v_mul_f32_e32 v21, v20, v76
	v_fma_f32 v36, -0.5, v18, v10
	v_add_f32_e32 v18, v88, v85
	v_fmac_f32_e32 v6, 0xbf5db3d7, v57
	v_fma_f32 v62, v71, v103, -v62
	v_dual_mul_f32 v71, v96, v78 :: v_dual_add_f32 v52, v43, v55
	s_delay_alu instid0(VALU_DEP_4)
	v_dual_add_f32 v57, v18, v86 :: v_dual_sub_f32 v18, v63, v65
	v_dual_add_f32 v10, v85, v86 :: v_dual_add_f32 v63, v24, v63
	v_fma_f32 v24, -0.5, v66, v24
	v_fma_f32 v66, v75, v102, -v21
	v_mul_f32_e32 v75, v107, v82
	v_sub_f32_e32 v43, v85, v86
	v_fmamk_f32 v29, v54, 0xbf5db3d7, v36
	v_fma_f32 v55, -0.5, v10, v88
	s_delay_alu instid0(VALU_DEP_4) | instskip(SKIP_3) | instid1(VALU_DEP_4)
	v_dual_add_f32 v10, v58, v60 :: v_dual_fmac_f32 v75, v19, v81
	v_fmac_f32_e32 v36, 0x3f5db3d7, v54
	v_fma_f32 v54, -0.5, v30, v25
	v_dual_add_f32 v30, v87, v58 :: v_dual_fmamk_f32 v27, v61, 0xbf5db3d7, v32
	v_sub_f32_e32 v19, v74, v75
	s_delay_alu instid0(VALU_DEP_3)
	v_dual_sub_f32 v69, v58, v60 :: v_dual_fmamk_f32 v58, v43, 0x3f5db3d7, v54
	v_fmac_f32_e32 v54, 0xbf5db3d7, v43
	v_fma_f32 v25, -0.5, v10, v87
	v_dual_add_f32 v10, v62, v64 :: v_dual_add_f32 v43, v101, v62
	v_sub_f32_e32 v62, v62, v64
	v_dual_fmac_f32 v32, 0x3f5db3d7, v61 :: v_dual_add_f32 v61, v30, v60
	v_add_f32_e32 v60, v63, v65
	v_sub_f32_e32 v30, v67, v68
	v_add_f32_e32 v63, v67, v68
	v_add_f32_e32 v65, v15, v67
	v_fma_f32 v67, v77, v96, -v23
	v_dual_fmac_f32 v71, v22, v77 :: v_dual_mul_f32 v72, v17, v80
	v_add_f32_e32 v23, v43, v64
	v_fma_f32 v15, -0.5, v63, v15
	v_add_f32_e32 v56, v56, v59
	v_fmamk_f32 v59, v16, 0xbf5db3d7, v55
	v_fmac_f32_e32 v55, 0x3f5db3d7, v16
	v_fma_f32 v16, -0.5, v10, v101
	v_add_f32_e32 v10, v66, v67
	v_fmamk_f32 v20, v69, 0x3f5db3d7, v24
	v_fmac_f32_e32 v24, 0xbf5db3d7, v69
	v_dual_add_f32 v22, v65, v68 :: v_dual_sub_f32 v43, v70, v71
	v_add_f32_e32 v64, v100, v66
	v_add_f32_e32 v68, v70, v71
	v_sub_f32_e32 v69, v66, v67
	v_add_f32_e32 v66, v14, v70
	v_fma_f32 v70, v79, v92, -v72
	v_fma_f32 v72, v81, v107, -v73
	v_fma_f32 v63, -0.5, v10, v100
	v_fmamk_f32 v17, v62, 0x3f5db3d7, v15
	v_fmac_f32_e32 v15, 0xbf5db3d7, v62
	v_fma_f32 v62, -0.5, v68, v14
	v_add_f32_e32 v10, v70, v72
	v_add_f32_e32 v68, v74, v75
	;; [unrolled: 1-line block ×3, first 2 shown]
	v_dual_add_f32 v64, v66, v71 :: v_dual_add_f32 v71, v13, v74
	v_fmamk_f32 v67, v43, 0xbf5db3d7, v63
	v_fmac_f32_e32 v63, 0x3f5db3d7, v43
	v_fmamk_f32 v21, v18, 0xbf5db3d7, v25
	v_fmac_f32_e32 v25, 0x3f5db3d7, v18
	;; [unrolled: 2-line block ×3, first 2 shown]
	v_add_f32_e32 v30, v105, v70
	v_sub_f32_e32 v70, v70, v72
	v_fma_f32 v14, -0.5, v10, v105
	v_fma_f32 v13, -0.5, v68, v13
	v_fmamk_f32 v66, v69, 0x3f5db3d7, v62
	v_dual_fmac_f32 v62, 0xbf5db3d7, v69 :: v_dual_add_f32 v69, v30, v72
	v_dual_add_f32 v68, v71, v75 :: v_dual_fmac_f32 v41, 0xbf5db3d7, v108
	s_clause 0x1
	global_store_b64 v[2:3], v[48:49], off offset:15120
	global_store_b64 v[2:3], v[26:27], off offset:15840
	v_fmamk_f32 v27, v19, 0xbf5db3d7, v14
	v_fmac_f32_e32 v14, 0x3f5db3d7, v19
	v_fmamk_f32 v26, v70, 0x3f5db3d7, v13
	v_fmac_f32_e32 v13, 0xbf5db3d7, v70
	s_clause 0x1b
	global_store_b64 v[2:3], v[46:47], off
	global_store_b64 v[2:3], v[39:40], off offset:720
	global_store_b64 v[2:3], v[33:34], off offset:1440
	;; [unrolled: 1-line block ×27, first 2 shown]
.LBB0_13:
	s_nop 0
	s_sendmsg sendmsg(MSG_DEALLOC_VGPRS)
	s_endpgm
	.section	.rodata,"a",@progbits
	.p2align	6, 0x0
	.amdhsa_kernel fft_rtc_back_len2700_factors_3_10_10_3_3_wgs_90_tpt_90_halfLds_sp_ip_CI_unitstride_sbrr_dirReg
		.amdhsa_group_segment_fixed_size 0
		.amdhsa_private_segment_fixed_size 0
		.amdhsa_kernarg_size 88
		.amdhsa_user_sgpr_count 2
		.amdhsa_user_sgpr_dispatch_ptr 0
		.amdhsa_user_sgpr_queue_ptr 0
		.amdhsa_user_sgpr_kernarg_segment_ptr 1
		.amdhsa_user_sgpr_dispatch_id 0
		.amdhsa_user_sgpr_private_segment_size 0
		.amdhsa_wavefront_size32 1
		.amdhsa_uses_dynamic_stack 0
		.amdhsa_enable_private_segment 0
		.amdhsa_system_sgpr_workgroup_id_x 1
		.amdhsa_system_sgpr_workgroup_id_y 0
		.amdhsa_system_sgpr_workgroup_id_z 0
		.amdhsa_system_sgpr_workgroup_info 0
		.amdhsa_system_vgpr_workitem_id 0
		.amdhsa_next_free_vgpr 147
		.amdhsa_next_free_sgpr 32
		.amdhsa_reserve_vcc 1
		.amdhsa_float_round_mode_32 0
		.amdhsa_float_round_mode_16_64 0
		.amdhsa_float_denorm_mode_32 3
		.amdhsa_float_denorm_mode_16_64 3
		.amdhsa_fp16_overflow 0
		.amdhsa_workgroup_processor_mode 1
		.amdhsa_memory_ordered 1
		.amdhsa_forward_progress 0
		.amdhsa_round_robin_scheduling 0
		.amdhsa_exception_fp_ieee_invalid_op 0
		.amdhsa_exception_fp_denorm_src 0
		.amdhsa_exception_fp_ieee_div_zero 0
		.amdhsa_exception_fp_ieee_overflow 0
		.amdhsa_exception_fp_ieee_underflow 0
		.amdhsa_exception_fp_ieee_inexact 0
		.amdhsa_exception_int_div_zero 0
	.end_amdhsa_kernel
	.text
.Lfunc_end0:
	.size	fft_rtc_back_len2700_factors_3_10_10_3_3_wgs_90_tpt_90_halfLds_sp_ip_CI_unitstride_sbrr_dirReg, .Lfunc_end0-fft_rtc_back_len2700_factors_3_10_10_3_3_wgs_90_tpt_90_halfLds_sp_ip_CI_unitstride_sbrr_dirReg
                                        ; -- End function
	.section	.AMDGPU.csdata,"",@progbits
; Kernel info:
; codeLenInByte = 17324
; NumSgprs: 34
; NumVgprs: 147
; ScratchSize: 0
; MemoryBound: 0
; FloatMode: 240
; IeeeMode: 1
; LDSByteSize: 0 bytes/workgroup (compile time only)
; SGPRBlocks: 4
; VGPRBlocks: 18
; NumSGPRsForWavesPerEU: 34
; NumVGPRsForWavesPerEU: 147
; Occupancy: 9
; WaveLimiterHint : 1
; COMPUTE_PGM_RSRC2:SCRATCH_EN: 0
; COMPUTE_PGM_RSRC2:USER_SGPR: 2
; COMPUTE_PGM_RSRC2:TRAP_HANDLER: 0
; COMPUTE_PGM_RSRC2:TGID_X_EN: 1
; COMPUTE_PGM_RSRC2:TGID_Y_EN: 0
; COMPUTE_PGM_RSRC2:TGID_Z_EN: 0
; COMPUTE_PGM_RSRC2:TIDIG_COMP_CNT: 0
	.text
	.p2alignl 7, 3214868480
	.fill 96, 4, 3214868480
	.type	__hip_cuid_28fd5260be06d385,@object ; @__hip_cuid_28fd5260be06d385
	.section	.bss,"aw",@nobits
	.globl	__hip_cuid_28fd5260be06d385
__hip_cuid_28fd5260be06d385:
	.byte	0                               ; 0x0
	.size	__hip_cuid_28fd5260be06d385, 1

	.ident	"AMD clang version 19.0.0git (https://github.com/RadeonOpenCompute/llvm-project roc-6.4.0 25133 c7fe45cf4b819c5991fe208aaa96edf142730f1d)"
	.section	".note.GNU-stack","",@progbits
	.addrsig
	.addrsig_sym __hip_cuid_28fd5260be06d385
	.amdgpu_metadata
---
amdhsa.kernels:
  - .args:
      - .actual_access:  read_only
        .address_space:  global
        .offset:         0
        .size:           8
        .value_kind:     global_buffer
      - .offset:         8
        .size:           8
        .value_kind:     by_value
      - .actual_access:  read_only
        .address_space:  global
        .offset:         16
        .size:           8
        .value_kind:     global_buffer
      - .actual_access:  read_only
        .address_space:  global
        .offset:         24
        .size:           8
        .value_kind:     global_buffer
      - .offset:         32
        .size:           8
        .value_kind:     by_value
      - .actual_access:  read_only
        .address_space:  global
        .offset:         40
        .size:           8
        .value_kind:     global_buffer
      - .actual_access:  read_only
        .address_space:  global
        .offset:         48
        .size:           8
        .value_kind:     global_buffer
      - .offset:         56
        .size:           4
        .value_kind:     by_value
      - .actual_access:  read_only
        .address_space:  global
        .offset:         64
        .size:           8
        .value_kind:     global_buffer
      - .actual_access:  read_only
        .address_space:  global
        .offset:         72
        .size:           8
        .value_kind:     global_buffer
      - .address_space:  global
        .offset:         80
        .size:           8
        .value_kind:     global_buffer
    .group_segment_fixed_size: 0
    .kernarg_segment_align: 8
    .kernarg_segment_size: 88
    .language:       OpenCL C
    .language_version:
      - 2
      - 0
    .max_flat_workgroup_size: 90
    .name:           fft_rtc_back_len2700_factors_3_10_10_3_3_wgs_90_tpt_90_halfLds_sp_ip_CI_unitstride_sbrr_dirReg
    .private_segment_fixed_size: 0
    .sgpr_count:     34
    .sgpr_spill_count: 0
    .symbol:         fft_rtc_back_len2700_factors_3_10_10_3_3_wgs_90_tpt_90_halfLds_sp_ip_CI_unitstride_sbrr_dirReg.kd
    .uniform_work_group_size: 1
    .uses_dynamic_stack: false
    .vgpr_count:     147
    .vgpr_spill_count: 0
    .wavefront_size: 32
    .workgroup_processor_mode: 1
amdhsa.target:   amdgcn-amd-amdhsa--gfx1201
amdhsa.version:
  - 1
  - 2
...

	.end_amdgpu_metadata
